;; amdgpu-corpus repo=ROCm/rocFFT kind=compiled arch=gfx906 opt=O3
	.text
	.amdgcn_target "amdgcn-amd-amdhsa--gfx906"
	.amdhsa_code_object_version 6
	.protected	bluestein_single_fwd_len585_dim1_half_op_CI_CI ; -- Begin function bluestein_single_fwd_len585_dim1_half_op_CI_CI
	.globl	bluestein_single_fwd_len585_dim1_half_op_CI_CI
	.p2align	8
	.type	bluestein_single_fwd_len585_dim1_half_op_CI_CI,@function
bluestein_single_fwd_len585_dim1_half_op_CI_CI: ; @bluestein_single_fwd_len585_dim1_half_op_CI_CI
; %bb.0:
	v_mul_u32_u24_e32 v1, 0x3f1, v0
	s_load_dwordx4 s[0:3], s[4:5], 0x28
	v_lshrrev_b32_e32 v1, 16, v1
	v_mad_u64_u32 v[16:17], s[6:7], s6, 3, v[1:2]
	v_mov_b32_e32 v17, 0
	s_waitcnt lgkmcnt(0)
	v_cmp_gt_u64_e32 vcc, s[0:1], v[16:17]
	s_and_saveexec_b64 s[0:1], vcc
	s_cbranch_execz .LBB0_23
; %bb.1:
	s_mov_b32 s0, 0xaaaaaaab
	v_mul_hi_u32 v2, v16, s0
	v_mul_lo_u16_e32 v1, 0x41, v1
	s_load_dwordx2 s[6:7], s[4:5], 0x0
	s_load_dwordx2 s[12:13], s[4:5], 0x38
	v_sub_u16_e32 v34, v0, v1
	v_lshrrev_b32_e32 v0, 1, v2
	v_lshl_add_u32 v0, v0, 1, v0
	v_sub_u32_e32 v0, v16, v0
	v_mul_u32_u24_e32 v21, 0x249, v0
	v_cmp_gt_u16_e32 vcc, 45, v34
	v_lshlrev_b32_e32 v33, 2, v34
	v_lshlrev_b32_e32 v35, 2, v21
	s_and_saveexec_b64 s[14:15], vcc
	s_cbranch_execz .LBB0_3
; %bb.2:
	s_load_dwordx2 s[0:1], s[4:5], 0x18
	v_lshl_add_u32 v7, v34, 2, v35
	s_waitcnt lgkmcnt(0)
	s_load_dwordx4 s[8:11], s[0:1], 0x0
	s_waitcnt lgkmcnt(0)
	v_mad_u64_u32 v[0:1], s[0:1], s10, v16, 0
	v_mad_u64_u32 v[2:3], s[0:1], s8, v34, 0
	;; [unrolled: 1-line block ×4, first 2 shown]
	v_mov_b32_e32 v1, v4
	v_lshlrev_b64 v[0:1], 2, v[0:1]
	v_mov_b32_e32 v3, v5
	v_mov_b32_e32 v6, s3
	v_lshlrev_b64 v[2:3], 2, v[2:3]
	v_add_co_u32_e64 v0, s[0:1], s2, v0
	v_addc_co_u32_e64 v1, s[0:1], v6, v1, s[0:1]
	v_add_co_u32_e64 v0, s[0:1], v0, v2
	v_addc_co_u32_e64 v1, s[0:1], v1, v3, s[0:1]
	s_mul_i32 s0, s9, 0xb4
	s_mul_hi_u32 s3, s8, 0xb4
	s_mul_i32 s2, s8, 0xb4
	s_add_i32 s3, s3, s0
	global_load_dword v2, v[0:1], off
	global_load_dword v3, v33, s[6:7]
	global_load_dword v4, v33, s[6:7] offset:180
	global_load_dword v5, v33, s[6:7] offset:360
	;; [unrolled: 1-line block ×3, first 2 shown]
	v_mov_b32_e32 v8, s3
	v_add_co_u32_e64 v0, s[0:1], s2, v0
	v_addc_co_u32_e64 v1, s[0:1], v1, v8, s[0:1]
	v_mov_b32_e32 v9, s3
	global_load_dword v8, v[0:1], off
	v_add_co_u32_e64 v0, s[0:1], s2, v0
	v_addc_co_u32_e64 v1, s[0:1], v1, v9, s[0:1]
	v_mov_b32_e32 v10, s3
	global_load_dword v9, v[0:1], off
	v_add_co_u32_e64 v0, s[0:1], s2, v0
	v_addc_co_u32_e64 v1, s[0:1], v1, v10, s[0:1]
	global_load_dword v10, v[0:1], off
	v_mov_b32_e32 v11, s3
	v_add_co_u32_e64 v0, s[0:1], s2, v0
	v_addc_co_u32_e64 v1, s[0:1], v1, v11, s[0:1]
	global_load_dword v11, v[0:1], off
	global_load_dword v12, v33, s[6:7] offset:720
	global_load_dword v13, v33, s[6:7] offset:900
	;; [unrolled: 1-line block ×4, first 2 shown]
	v_mov_b32_e32 v17, s3
	v_add_co_u32_e64 v0, s[0:1], s2, v0
	v_addc_co_u32_e64 v1, s[0:1], v1, v17, s[0:1]
	global_load_dword v17, v[0:1], off
	v_mov_b32_e32 v18, s3
	v_add_co_u32_e64 v0, s[0:1], s2, v0
	v_addc_co_u32_e64 v1, s[0:1], v1, v18, s[0:1]
	global_load_dword v18, v[0:1], off
	global_load_dword v19, v33, s[6:7] offset:1440
	global_load_dword v20, v33, s[6:7] offset:1620
	;; [unrolled: 1-line block ×3, first 2 shown]
	v_mov_b32_e32 v23, s3
	v_add_co_u32_e64 v0, s[0:1], s2, v0
	v_addc_co_u32_e64 v1, s[0:1], v1, v23, s[0:1]
	global_load_dword v23, v[0:1], off
	v_mov_b32_e32 v24, s3
	v_add_co_u32_e64 v0, s[0:1], s2, v0
	v_addc_co_u32_e64 v1, s[0:1], v1, v24, s[0:1]
	global_load_dword v24, v[0:1], off
	;; [unrolled: 4-line block ×5, first 2 shown]
	global_load_dword v31, v33, s[6:7] offset:1980
	v_add_co_u32_e64 v0, s[0:1], s2, v0
	v_addc_co_u32_e64 v1, s[0:1], v1, v27, s[0:1]
	global_load_dword v27, v[0:1], off
	global_load_dword v32, v33, s[6:7] offset:2160
	s_waitcnt vmcnt(25)
	v_lshrrev_b32_e32 v28, 16, v2
	s_waitcnt vmcnt(24)
	v_mul_f16_sdwa v29, v3, v2 dst_sel:DWORD dst_unused:UNUSED_PAD src0_sel:WORD_1 src1_sel:DWORD
	v_mul_f16_sdwa v0, v3, v28 dst_sel:DWORD dst_unused:UNUSED_PAD src0_sel:WORD_1 src1_sel:DWORD
	v_fma_f16 v29, v3, v28, -v29
	v_fma_f16 v0, v3, v2, v0
	v_pack_b32_f16 v0, v0, v29
	ds_write_b32 v7, v0
	v_add_u32_e32 v3, v35, v33
	s_waitcnt vmcnt(20)
	v_lshrrev_b32_e32 v1, 16, v8
	v_mul_f16_sdwa v2, v4, v8 dst_sel:DWORD dst_unused:UNUSED_PAD src0_sel:WORD_1 src1_sel:DWORD
	v_fma_f16 v2, v4, v1, -v2
	v_mul_f16_sdwa v1, v4, v1 dst_sel:DWORD dst_unused:UNUSED_PAD src0_sel:WORD_1 src1_sel:DWORD
	v_fma_f16 v1, v4, v8, v1
	v_pack_b32_f16 v1, v1, v2
	s_waitcnt vmcnt(19)
	v_lshrrev_b32_e32 v0, 16, v9
	v_mul_f16_sdwa v4, v5, v9 dst_sel:DWORD dst_unused:UNUSED_PAD src0_sel:WORD_1 src1_sel:DWORD
	v_fma_f16 v4, v5, v0, -v4
	v_mul_f16_sdwa v0, v5, v0 dst_sel:DWORD dst_unused:UNUSED_PAD src0_sel:WORD_1 src1_sel:DWORD
	v_fma_f16 v0, v5, v9, v0
	s_waitcnt vmcnt(18)
	v_lshrrev_b32_e32 v5, 16, v10
	v_mul_f16_sdwa v7, v6, v10 dst_sel:DWORD dst_unused:UNUSED_PAD src0_sel:WORD_1 src1_sel:DWORD
	v_mul_f16_sdwa v2, v6, v5 dst_sel:DWORD dst_unused:UNUSED_PAD src0_sel:WORD_1 src1_sel:DWORD
	v_fma_f16 v5, v6, v5, -v7
	s_waitcnt vmcnt(17)
	v_lshrrev_b32_e32 v7, 16, v11
	v_pack_b32_f16 v0, v0, v4
	s_waitcnt vmcnt(16)
	v_mul_f16_sdwa v4, v12, v11 dst_sel:DWORD dst_unused:UNUSED_PAD src0_sel:WORD_1 src1_sel:DWORD
	v_fma_f16 v2, v6, v10, v2
	v_mul_f16_sdwa v6, v12, v7 dst_sel:DWORD dst_unused:UNUSED_PAD src0_sel:WORD_1 src1_sel:DWORD
	v_fma_f16 v4, v12, v7, -v4
	ds_write2_b32 v3, v1, v0 offset0:45 offset1:90
	v_fma_f16 v1, v12, v11, v6
	v_pack_b32_f16 v0, v2, v5
	v_pack_b32_f16 v1, v1, v4
	ds_write2_b32 v3, v0, v1 offset0:135 offset1:180
	s_waitcnt vmcnt(12)
	v_lshrrev_b32_e32 v0, 16, v17
	v_mul_f16_sdwa v1, v13, v0 dst_sel:DWORD dst_unused:UNUSED_PAD src0_sel:WORD_1 src1_sel:DWORD
	v_mul_f16_sdwa v2, v13, v17 dst_sel:DWORD dst_unused:UNUSED_PAD src0_sel:WORD_1 src1_sel:DWORD
	v_fma_f16 v1, v13, v17, v1
	v_fma_f16 v0, v13, v0, -v2
	v_pack_b32_f16 v0, v1, v0
	s_waitcnt vmcnt(11)
	v_lshrrev_b32_e32 v1, 16, v18
	v_mul_f16_sdwa v2, v14, v1 dst_sel:DWORD dst_unused:UNUSED_PAD src0_sel:WORD_1 src1_sel:DWORD
	v_mul_f16_sdwa v4, v14, v18 dst_sel:DWORD dst_unused:UNUSED_PAD src0_sel:WORD_1 src1_sel:DWORD
	v_fma_f16 v2, v14, v18, v2
	v_fma_f16 v1, v14, v1, -v4
	v_pack_b32_f16 v1, v2, v1
	v_add_u32_e32 v2, 0x200, v3
	ds_write2_b32 v2, v0, v1 offset0:97 offset1:142
	s_waitcnt vmcnt(7)
	v_lshrrev_b32_e32 v0, 16, v23
	v_mul_f16_sdwa v1, v15, v0 dst_sel:DWORD dst_unused:UNUSED_PAD src0_sel:WORD_1 src1_sel:DWORD
	v_mul_f16_sdwa v2, v15, v23 dst_sel:DWORD dst_unused:UNUSED_PAD src0_sel:WORD_1 src1_sel:DWORD
	v_fma_f16 v1, v15, v23, v1
	v_fma_f16 v0, v15, v0, -v2
	v_pack_b32_f16 v0, v1, v0
	s_waitcnt vmcnt(6)
	v_lshrrev_b32_e32 v1, 16, v24
	v_mul_f16_sdwa v2, v19, v1 dst_sel:DWORD dst_unused:UNUSED_PAD src0_sel:WORD_1 src1_sel:DWORD
	v_mul_f16_sdwa v4, v19, v24 dst_sel:DWORD dst_unused:UNUSED_PAD src0_sel:WORD_1 src1_sel:DWORD
	v_fma_f16 v2, v19, v24, v2
	v_fma_f16 v1, v19, v1, -v4
	v_pack_b32_f16 v1, v2, v1
	v_add_u32_e32 v2, 0x400, v3
	ds_write2_b32 v2, v0, v1 offset0:59 offset1:104
	s_waitcnt vmcnt(5)
	v_lshrrev_b32_e32 v0, 16, v25
	v_mul_f16_sdwa v1, v20, v0 dst_sel:DWORD dst_unused:UNUSED_PAD src0_sel:WORD_1 src1_sel:DWORD
	v_mul_f16_sdwa v4, v20, v25 dst_sel:DWORD dst_unused:UNUSED_PAD src0_sel:WORD_1 src1_sel:DWORD
	v_fma_f16 v1, v20, v25, v1
	v_fma_f16 v0, v20, v0, -v4
	v_pack_b32_f16 v0, v1, v0
	s_waitcnt vmcnt(4)
	v_lshrrev_b32_e32 v1, 16, v26
	v_mul_f16_sdwa v4, v22, v1 dst_sel:DWORD dst_unused:UNUSED_PAD src0_sel:WORD_1 src1_sel:DWORD
	v_mul_f16_sdwa v5, v22, v26 dst_sel:DWORD dst_unused:UNUSED_PAD src0_sel:WORD_1 src1_sel:DWORD
	v_fma_f16 v4, v22, v26, v4
	v_fma_f16 v1, v22, v1, -v5
	v_pack_b32_f16 v1, v4, v1
	ds_write2_b32 v2, v0, v1 offset0:149 offset1:194
	s_waitcnt vmcnt(3)
	v_lshrrev_b32_e32 v0, 16, v30
	s_waitcnt vmcnt(2)
	v_mul_f16_sdwa v1, v31, v0 dst_sel:DWORD dst_unused:UNUSED_PAD src0_sel:WORD_1 src1_sel:DWORD
	v_mul_f16_sdwa v2, v31, v30 dst_sel:DWORD dst_unused:UNUSED_PAD src0_sel:WORD_1 src1_sel:DWORD
	v_fma_f16 v1, v31, v30, v1
	v_fma_f16 v0, v31, v0, -v2
	v_pack_b32_f16 v0, v1, v0
	s_waitcnt vmcnt(1)
	v_lshrrev_b32_e32 v1, 16, v27
	s_waitcnt vmcnt(0)
	v_mul_f16_sdwa v2, v32, v1 dst_sel:DWORD dst_unused:UNUSED_PAD src0_sel:WORD_1 src1_sel:DWORD
	v_mul_f16_sdwa v4, v32, v27 dst_sel:DWORD dst_unused:UNUSED_PAD src0_sel:WORD_1 src1_sel:DWORD
	v_fma_f16 v2, v32, v27, v2
	v_fma_f16 v1, v32, v1, -v4
	v_pack_b32_f16 v1, v2, v1
	v_add_u32_e32 v2, 0x600, v3
	ds_write2_b32 v2, v0, v1 offset0:111 offset1:156
.LBB0_3:
	s_or_b64 exec, exec, s[14:15]
	v_mov_b32_e32 v0, 0
	s_waitcnt lgkmcnt(0)
	s_barrier
	s_waitcnt lgkmcnt(0)
                                        ; implicit-def: $vgpr3
                                        ; implicit-def: $vgpr6
                                        ; implicit-def: $vgpr5
                                        ; implicit-def: $vgpr10
                                        ; implicit-def: $vgpr9
                                        ; implicit-def: $vgpr15
	s_and_saveexec_b64 s[0:1], vcc
	s_cbranch_execz .LBB0_5
; %bb.4:
	v_lshl_add_u32 v12, v21, 2, v33
	v_add_u32_e32 v10, 0x400, v12
	ds_read2_b32 v[0:1], v12 offset1:45
	ds_read2_b32 v[8:9], v12 offset0:90 offset1:135
	ds_read2_b32 v[4:5], v12 offset0:180 offset1:225
	;; [unrolled: 1-line block ×5, first 2 shown]
	ds_read_b32 v15, v12 offset:2160
.LBB0_5:
	s_or_b64 exec, exec, s[0:1]
	s_waitcnt lgkmcnt(0)
	v_pk_add_f16 v14, v1, v15 neg_lo:[0,1] neg_hi:[0,1]
	s_mov_b32 s0, 0xb770
	v_pk_add_f16 v25, v15, v1
	s_movk_i32 s2, 0x3b15
	v_mul_f16_sdwa v19, v14, s0 dst_sel:DWORD dst_unused:UNUSED_PAD src0_sel:WORD_1 src1_sel:DWORD
	s_mov_b32 s3, 0xba95
	v_pk_add_f16 v20, v8, v11 neg_lo:[0,1] neg_hi:[0,1]
	v_fma_f16 v12, v25, s2, v19
	s_movk_i32 s1, 0x388b
	v_mul_f16_sdwa v22, v14, s3 dst_sel:DWORD dst_unused:UNUSED_PAD src0_sel:WORD_1 src1_sel:DWORD
	s_mov_b32 s8, 0xbb7b
	v_pk_add_f16 v26, v11, v8
	v_mul_f16_sdwa v23, v20, s3 dst_sel:DWORD dst_unused:UNUSED_PAD src0_sel:WORD_1 src1_sel:DWORD
	v_fma_f16 v13, v25, s1, v22
	s_mov_b32 s0, 0xb5ac
	v_fma_f16 v17, v26, s1, v23
	v_add_f16_e32 v12, v12, v0
	v_mul_f16_sdwa v28, v20, s8 dst_sel:DWORD dst_unused:UNUSED_PAD src0_sel:WORD_1 src1_sel:DWORD
	s_mov_b32 s15, 0xbbf1
	v_pk_add_f16 v24, v9, v10 neg_lo:[0,1] neg_hi:[0,1]
	v_add_f16_e32 v12, v17, v12
	v_add_f16_e32 v13, v13, v0
	v_fma_f16 v17, v26, s0, v28
	s_movk_i32 s9, 0x2fb7
	v_pk_add_f16 v40, v10, v9
	v_mul_f16_sdwa v27, v24, s15 dst_sel:DWORD dst_unused:UNUSED_PAD src0_sel:WORD_1 src1_sel:DWORD
	s_mov_b32 s16, 0xb3a8
	v_add_f16_e32 v13, v17, v13
	v_fma_f16 v17, v40, s9, v27
	s_mov_b32 s11, 0xbbc4
	v_mul_f16_sdwa v30, v24, s16 dst_sel:DWORD dst_unused:UNUSED_PAD src0_sel:WORD_1 src1_sel:DWORD
	v_pk_add_f16 v38, v4, v7 neg_lo:[0,1] neg_hi:[0,1]
	v_add_f16_e32 v12, v17, v12
	v_fma_f16 v17, v40, s11, v30
	v_pk_add_f16 v48, v7, v4
	v_mul_f16_sdwa v29, v38, s8 dst_sel:DWORD dst_unused:UNUSED_PAD src0_sel:WORD_1 src1_sel:DWORD
	s_movk_i32 s17, 0x394e
	v_add_f16_e32 v13, v17, v13
	v_fma_f16 v17, v48, s0, v29
	s_mov_b32 s10, 0xb9fd
	v_mul_f16_sdwa v32, v38, s17 dst_sel:DWORD dst_unused:UNUSED_PAD src0_sel:WORD_1 src1_sel:DWORD
	s_mov_b32 s14, 0xb94e
	v_pk_add_f16 v41, v5, v6 neg_lo:[0,1] neg_hi:[0,1]
	v_add_f16_e32 v12, v17, v12
	v_fma_f16 v17, v48, s10, v32
	v_pk_add_f16 v49, v6, v5
	v_mul_f16_sdwa v31, v41, s14 dst_sel:DWORD dst_unused:UNUSED_PAD src0_sel:WORD_1 src1_sel:DWORD
	s_movk_i32 s18, 0x3bf1
	v_add_f16_e32 v13, v17, v13
	v_fma_f16 v17, v49, s10, v31
	v_mul_f16_sdwa v37, v41, s18 dst_sel:DWORD dst_unused:UNUSED_PAD src0_sel:WORD_1 src1_sel:DWORD
	v_pk_add_f16 v88, v2, v3 neg_lo:[0,1] neg_hi:[0,1]
	v_add_f16_e32 v12, v17, v12
	v_fma_f16 v17, v49, s9, v37
	s_movk_i32 s19, 0x3770
	v_pk_add_f16 v50, v3, v2
	v_mul_f16_sdwa v36, v88, s16 dst_sel:DWORD dst_unused:UNUSED_PAD src0_sel:WORD_1 src1_sel:DWORD
	v_add_f16_e32 v13, v17, v13
	v_fma_f16 v17, v50, s11, v36
	v_mul_f16_sdwa v39, v88, s19 dst_sel:DWORD dst_unused:UNUSED_PAD src0_sel:WORD_1 src1_sel:DWORD
	v_add_f16_e32 v18, v17, v12
	v_fma_f16 v12, v50, s2, v39
	;; [unrolled: 3-line block ×4, first 2 shown]
	v_mul_f16_sdwa v44, v24, s3 dst_sel:DWORD dst_unused:UNUSED_PAD src0_sel:WORD_1 src1_sel:DWORD
	s_movk_i32 s20, 0x33a8
	v_add_f16_e32 v12, v13, v12
	v_fma_f16 v13, v40, s1, v44
	v_mul_f16_sdwa v45, v38, s20 dst_sel:DWORD dst_unused:UNUSED_PAD src0_sel:WORD_1 src1_sel:DWORD
	v_add_f16_e32 v12, v13, v12
	v_fma_f16 v13, v48, s11, v45
	v_mul_f16_sdwa v46, v41, s19 dst_sel:DWORD dst_unused:UNUSED_PAD src0_sel:WORD_1 src1_sel:DWORD
	v_add_f16_e32 v12, v13, v12
	v_fma_f16 v13, v49, s2, v46
	v_pk_mul_f16 v47, v14, s16 op_sel_hi:[1,0]
	v_add_f16_e32 v12, v13, v12
	v_pk_fma_f16 v13, v25, s11, v47 op_sel:[0,0,1] op_sel_hi:[1,0,0]
	v_pk_mul_f16 v57, v20, s19 op_sel_hi:[1,0]
	v_pk_add_f16 v13, v13, v0
	v_pk_fma_f16 v51, v26, s2, v57 op_sel:[0,0,1] op_sel_hi:[1,0,0]
	v_pk_mul_f16 v61, v24, s14 op_sel_hi:[1,0]
	s_movk_i32 s21, 0x3a95
	v_pk_add_f16 v13, v51, v13
	v_pk_fma_f16 v51, v40, s10, v61 op_sel:[0,0,1] op_sel_hi:[1,0,0]
	v_pk_mul_f16 v65, v38, s21 op_sel_hi:[1,0]
	v_pk_add_f16 v13, v51, v13
	v_pk_fma_f16 v51, v48, s1, v65 op_sel:[0,0,1] op_sel_hi:[1,0,0]
	v_pk_mul_f16 v74, v41, s8 op_sel_hi:[1,0]
	v_pk_add_f16 v13, v51, v13
	v_pk_fma_f16 v51, v49, s0, v74 op_sel:[0,0,1] op_sel_hi:[1,0,0]
	v_mul_f16_sdwa v93, v88, s8 dst_sel:DWORD dst_unused:UNUSED_PAD src0_sel:WORD_1 src1_sel:DWORD
	v_pk_add_f16 v51, v51, v13
	v_fma_f16 v13, v50, s0, v93
	v_pk_mul_f16 v94, v88, s18 op_sel_hi:[1,0]
	v_add_f16_e32 v13, v13, v12
	v_pk_fma_f16 v12, v50, s9, v94 op_sel:[0,0,1] op_sel_hi:[1,0,0]
	v_pk_add_f16 v12, v12, v51
	v_lshrrev_b32_e32 v71, 16, v25
	v_mul_f16_e32 v51, 0xb770, v14
	v_fma_f16 v52, v71, s2, -v51
	v_add_f16_sdwa v53, v52, v0 dst_sel:DWORD dst_unused:UNUSED_PAD src0_sel:DWORD src1_sel:WORD_1
	v_lshrrev_b32_e32 v70, 16, v26
	v_mul_f16_e32 v52, 0xba95, v20
	v_fma_f16 v54, v70, s1, -v52
	v_add_f16_e32 v60, v54, v53
	v_mul_f16_e32 v53, 0xba95, v14
	v_fma_f16 v54, v71, s1, -v53
	v_add_f16_sdwa v55, v54, v0 dst_sel:DWORD dst_unused:UNUSED_PAD src0_sel:DWORD src1_sel:WORD_1
	v_mul_f16_e32 v54, 0xbb7b, v20
	v_fma_f16 v56, v70, s0, -v54
	v_add_f16_e32 v64, v56, v55
	v_mul_f16_sdwa v55, v14, s15 dst_sel:DWORD dst_unused:UNUSED_PAD src0_sel:WORD_1 src1_sel:DWORD
	v_fma_f16 v56, v25, s9, v55
	v_add_f16_e32 v58, v56, v0
	v_mul_f16_sdwa v56, v20, s16 dst_sel:DWORD dst_unused:UNUSED_PAD src0_sel:WORD_1 src1_sel:DWORD
	v_fma_f16 v59, v26, s11, v56
	v_add_f16_e32 v66, v59, v58
	v_mul_f16_e32 v58, 0xbbf1, v14
	v_fma_f16 v59, v71, s9, -v58
	v_add_f16_sdwa v62, v59, v0 dst_sel:DWORD dst_unused:UNUSED_PAD src0_sel:DWORD src1_sel:WORD_1
	v_mul_f16_e32 v59, 0xb3a8, v20
	v_fma_f16 v63, v70, s11, -v59
	v_add_f16_e32 v72, v63, v62
	v_mul_f16_sdwa v62, v14, s8 dst_sel:DWORD dst_unused:UNUSED_PAD src0_sel:WORD_1 src1_sel:DWORD
	v_fma_f16 v63, v25, s0, v62
	v_add_f16_e32 v67, v63, v0
	v_mul_f16_sdwa v63, v20, s17 dst_sel:DWORD dst_unused:UNUSED_PAD src0_sel:WORD_1 src1_sel:DWORD
	v_fma_f16 v68, v26, s10, v63
	v_add_f16_e32 v75, v68, v67
	v_mul_f16_e32 v67, 0xbb7b, v14
	v_fma_f16 v68, v71, s0, -v67
	v_fma_f16 v42, v25, s10, -v42
	v_add_f16_sdwa v69, v68, v0 dst_sel:DWORD dst_unused:UNUSED_PAD src0_sel:DWORD src1_sel:WORD_1
	v_mul_f16_e32 v68, 0x394e, v20
	v_fma_f16 v43, v26, s9, -v43
	v_add_f16_e32 v42, v42, v0
	v_mul_f16_e32 v14, 0xb94e, v14
	v_fma_f16 v73, v70, s10, -v68
	v_add_f16_e32 v42, v43, v42
	v_mul_f16_e32 v20, 0x3bf1, v20
	v_fma_f16 v43, v71, s10, v14
	v_fma_f16 v14, v71, s10, -v14
	v_add_f16_e32 v76, v73, v69
	v_fma_f16 v69, v70, s9, v20
	v_fma_f16 v20, v70, s9, -v20
	v_add_f16_sdwa v14, v14, v0 dst_sel:DWORD dst_unused:UNUSED_PAD src0_sel:DWORD src1_sel:WORD_1
	v_add_f16_e32 v14, v20, v14
	v_pk_fma_f16 v20, v25, s11, v47 op_sel:[0,0,1] op_sel_hi:[1,0,0] neg_lo:[0,0,1] neg_hi:[0,0,1]
	v_pk_add_f16 v20, v20, v0
	v_pk_fma_f16 v47, v26, s2, v57 op_sel:[0,0,1] op_sel_hi:[1,0,0] neg_lo:[0,0,1] neg_hi:[0,0,1]
	v_lshrrev_b32_e32 v81, 16, v40
	v_mul_f16_e32 v57, 0xbbf1, v24
	v_pk_add_f16 v20, v47, v20
	v_fma_f16 v47, v81, s9, -v57
	v_add_f16_sdwa v43, v43, v0 dst_sel:DWORD dst_unused:UNUSED_PAD src0_sel:DWORD src1_sel:WORD_1
	v_add_f16_e32 v47, v47, v60
	v_mul_f16_e32 v60, 0xb3a8, v24
	v_add_f16_e32 v43, v69, v43
	v_fma_f16 v69, v81, s11, -v60
	s_movk_i32 s8, 0x3b7b
	v_add_f16_e32 v78, v69, v64
	v_mul_f16_sdwa v64, v24, s8 dst_sel:DWORD dst_unused:UNUSED_PAD src0_sel:WORD_1 src1_sel:DWORD
	v_fma_f16 v69, v40, s0, v64
	v_add_f16_e32 v79, v69, v66
	v_mul_f16_e32 v69, 0x3b7b, v24
	v_fma_f16 v66, v81, s0, -v69
	v_mul_f16_sdwa v73, v24, s19 dst_sel:DWORD dst_unused:UNUSED_PAD src0_sel:WORD_1 src1_sel:DWORD
	v_mul_f16_e32 v77, 0x3770, v24
	v_fma_f16 v44, v40, s1, -v44
	v_mul_f16_e32 v24, 0xba95, v24
	v_add_f16_e32 v80, v66, v72
	v_fma_f16 v66, v40, s2, v73
	v_add_f16_e32 v42, v44, v42
	v_fma_f16 v44, v81, s1, v24
	v_fma_f16 v24, v81, s1, -v24
	v_add_f16_e32 v75, v66, v75
	v_fma_f16 v66, v81, s2, -v77
	v_add_f16_e32 v14, v24, v14
	v_pk_fma_f16 v24, v40, s10, v61 op_sel:[0,0,1] op_sel_hi:[1,0,0] neg_lo:[0,0,1] neg_hi:[0,0,1]
	v_lshrrev_b32_e32 v85, 16, v48
	v_mul_f16_e32 v61, 0xbb7b, v38
	v_add_f16_e32 v82, v66, v76
	v_pk_add_f16 v20, v24, v20
	v_fma_f16 v24, v85, s0, -v61
	v_mul_f16_e32 v66, 0x394e, v38
	v_mul_f16_sdwa v72, v38, s19 dst_sel:DWORD dst_unused:UNUSED_PAD src0_sel:WORD_1 src1_sel:DWORD
	v_add_f16_e32 v43, v44, v43
	v_add_f16_e32 v24, v24, v47
	v_fma_f16 v44, v85, s10, -v66
	v_fma_f16 v47, v48, s2, v72
	v_mul_f16_e32 v76, 0x3770, v38
	v_add_f16_e32 v44, v44, v78
	v_add_f16_e32 v47, v47, v79
	v_fma_f16 v78, v85, s2, -v76
	v_mul_f16_sdwa v79, v38, s15 dst_sel:DWORD dst_unused:UNUSED_PAD src0_sel:WORD_1 src1_sel:DWORD
	v_mul_f16_e32 v83, 0xbbf1, v38
	v_fma_f16 v45, v48, s11, -v45
	v_mul_f16_e32 v38, 0x33a8, v38
	v_add_f16_e32 v80, v78, v80
	v_fma_f16 v78, v48, s9, v79
	v_add_f16_e32 v42, v45, v42
	v_fma_f16 v45, v85, s11, v38
	v_fma_f16 v38, v85, s11, -v38
	v_add_f16_e32 v86, v78, v75
	v_fma_f16 v75, v85, s9, -v83
	v_add_f16_e32 v14, v38, v14
	v_pk_fma_f16 v38, v48, s1, v65 op_sel:[0,0,1] op_sel_hi:[1,0,0] neg_lo:[0,0,1] neg_hi:[0,0,1]
	v_lshrrev_b32_e32 v89, 16, v49
	v_mul_f16_e32 v65, 0xb94e, v41
	v_add_f16_e32 v90, v75, v82
	v_pk_add_f16 v20, v38, v20
	v_fma_f16 v38, v89, s10, -v65
	v_mul_f16_e32 v75, 0x3bf1, v41
	v_add_f16_e32 v24, v38, v24
	v_fma_f16 v38, v89, s9, -v75
	v_mul_f16_sdwa v78, v41, s3 dst_sel:DWORD dst_unused:UNUSED_PAD src0_sel:WORD_1 src1_sel:DWORD
	v_mul_f16_e32 v82, 0xba95, v41
	v_mul_f16_sdwa v84, v41, s20 dst_sel:DWORD dst_unused:UNUSED_PAD src0_sel:WORD_1 src1_sel:DWORD
	v_mul_f16_e32 v87, 0x33a8, v41
	v_fma_f16 v46, v49, s2, -v46
	v_mul_f16_e32 v41, 0x3770, v41
	v_add_f16_e32 v38, v38, v44
	v_fma_f16 v44, v49, s1, v78
	v_add_f16_e32 v96, v46, v42
	v_fma_f16 v42, v89, s2, v41
	v_fma_f16 v41, v89, s2, -v41
	v_add_f16_e32 v95, v44, v47
	v_fma_f16 v44, v89, s1, -v82
	v_add_f16_e32 v14, v41, v14
	v_pk_fma_f16 v41, v49, s0, v74 op_sel:[0,0,1] op_sel_hi:[1,0,0] neg_lo:[0,0,1] neg_hi:[0,0,1]
	v_lshrrev_b32_e32 v91, 16, v50
	v_mul_f16_e32 v74, 0xb3a8, v88
	v_add_f16_e32 v43, v45, v43
	v_add_f16_e32 v44, v44, v80
	v_fma_f16 v45, v49, s11, v84
	v_pk_add_f16 v20, v41, v20
	v_fma_f16 v41, v91, s11, -v74
	v_mul_f16_e32 v80, 0x3770, v88
	v_add_f16_e32 v45, v45, v86
	v_fma_f16 v47, v89, s11, -v87
	v_add_f16_e32 v41, v41, v24
	v_fma_f16 v24, v91, s2, -v80
	v_mul_f16_e32 v86, 0xb94e, v88
	v_add_f16_e32 v47, v47, v90
	v_add_f16_e32 v46, v42, v43
	v_add_f16_e32 v42, v24, v38
	v_fma_f16 v24, v91, s10, -v86
	v_mul_f16_sdwa v90, v88, s21 dst_sel:DWORD dst_unused:UNUSED_PAD src0_sel:WORD_1 src1_sel:DWORD
	v_add_f16_e32 v43, v24, v44
	v_fma_f16 v24, v50, s1, v90
	v_mul_f16_e32 v92, 0x3a95, v88
	v_add_f16_e32 v44, v24, v45
	v_fma_f16 v24, v91, s1, -v92
	v_mul_f16_e32 v38, 0xbb7b, v88
	v_add_f16_e32 v45, v24, v47
	v_fma_f16 v24, v91, s0, v38
	v_fma_f16 v38, v91, s0, -v38
	v_add_f16_e32 v24, v24, v46
	v_add_f16_e32 v46, v38, v14
	v_pk_fma_f16 v14, v50, s9, v94 op_sel:[0,0,1] op_sel_hi:[1,0,0] neg_lo:[0,0,1] neg_hi:[0,0,1]
	s_load_dwordx2 s[8:9], s[4:5], 0x20
	s_load_dwordx2 s[2:3], s[4:5], 0x8
	v_mul_f16_sdwa v88, v88, s14 dst_sel:DWORD dst_unused:UNUSED_PAD src0_sel:WORD_1 src1_sel:DWORD
	v_pk_add_f16 v47, v14, v20
	v_fma_f16 v14, v50, s0, -v93
	v_fma_f16 v20, v50, s10, v88
	v_add_f16_e32 v20, v20, v95
	v_add_f16_e32 v14, v14, v96
	v_mul_lo_u16_e32 v38, 13, v34
	s_waitcnt lgkmcnt(0)
	s_barrier
	s_and_saveexec_b64 s[0:1], vcc
	s_cbranch_execz .LBB0_7
; %bb.6:
	v_mul_f16_e32 v93, 0x3b15, v25
	v_mul_f16_e32 v95, 0x388b, v25
	;; [unrolled: 1-line block ×8, first 2 shown]
	v_sub_f16_e32 v25, v25, v62
	v_mul_f16_e32 v105, 0x2fb7, v40
	v_mul_f16_e32 v107, 0xbbc4, v40
	;; [unrolled: 1-line block ×4, first 2 shown]
	v_add_f16_e32 v25, v25, v0
	v_sub_f16_e32 v26, v26, v63
	v_mul_f16_e32 v111, 0xb5ac, v48
	v_mul_f16_e32 v113, 0xb9fd, v48
	;; [unrolled: 1-line block ×4, first 2 shown]
	v_add_f16_e32 v25, v26, v25
	v_sub_f16_e32 v26, v40, v73
	v_mul_f16_e32 v100, 0x388b, v70
	v_mul_f16_e32 v102, 0xb5ac, v70
	;; [unrolled: 1-line block ×8, first 2 shown]
	v_add_f16_e32 v25, v26, v25
	v_sub_f16_e32 v26, v48, v79
	v_mul_f16_e32 v123, 0xbbc4, v50
	v_mul_f16_e32 v125, 0x3b15, v50
	v_add_f16_e32 v68, v68, v70
	v_mul_f16_e32 v70, 0xb9fd, v50
	v_mul_f16_e32 v50, 0x388b, v50
	v_add_f16_e32 v25, v26, v25
	v_sub_f16_e32 v26, v49, v84
	v_mul_f16_e32 v98, 0x2fb7, v71
	v_add_f16_e32 v25, v26, v25
	v_sub_f16_e32 v26, v50, v90
	v_add_f16_e32 v25, v26, v25
	v_add_f16_e32 v26, v58, v98
	v_mul_f16_e32 v94, 0x3b15, v71
	v_mul_f16_e32 v96, 0x388b, v71
	;; [unrolled: 1-line block ×4, first 2 shown]
	v_add_f16_sdwa v26, v26, v0 dst_sel:DWORD dst_unused:UNUSED_PAD src0_sel:DWORD src1_sel:WORD_1
	v_add_f16_e32 v40, v59, v104
	v_mul_f16_e32 v116, 0x3b15, v85
	v_add_f16_e32 v67, v67, v71
	v_add_f16_e32 v26, v40, v26
	v_add_f16_e32 v40, v69, v110
	v_mul_f16_e32 v122, 0x388b, v89
	v_add_f16_sdwa v67, v67, v0 dst_sel:DWORD dst_unused:UNUSED_PAD src0_sel:DWORD src1_sel:WORD_1
	v_add_f16_e32 v26, v40, v26
	v_add_f16_e32 v40, v76, v116
	;; [unrolled: 1-line block ×3, first 2 shown]
	v_mul_f16_e32 v68, 0xb9fd, v91
	v_add_f16_e32 v26, v40, v26
	v_add_f16_e32 v40, v82, v122
	;; [unrolled: 1-line block ×5, first 2 shown]
	v_sub_f16_e32 v40, v97, v55
	v_sub_f16_e32 v22, v95, v22
	v_add_f16_e32 v40, v40, v0
	v_sub_f16_e32 v48, v103, v56
	v_add_f16_e32 v22, v22, v0
	;; [unrolled: 2-line block ×11, first 2 shown]
	v_add_f16_e32 v48, v53, v96
	v_add_f16_e32 v22, v28, v22
	;; [unrolled: 1-line block ×3, first 2 shown]
	v_sub_f16_e32 v19, v93, v19
	v_add_f16_sdwa v48, v48, v0 dst_sel:DWORD dst_unused:UNUSED_PAD src0_sel:DWORD src1_sel:WORD_1
	v_add_f16_sdwa v28, v28, v0 dst_sel:DWORD dst_unused:UNUSED_PAD src0_sel:DWORD src1_sel:WORD_1
	v_add_f16_e32 v19, v19, v0
	v_pk_add_f16 v0, v1, v0
	v_pk_add_f16 v0, v8, v0
	;; [unrolled: 1-line block ×5, first 2 shown]
	v_mul_f16_e32 v106, 0x2fb7, v81
	v_add_f16_e32 v30, v52, v100
	v_sub_f16_e32 v23, v99, v23
	v_pk_add_f16 v0, v2, v0
	v_mul_f16_e32 v108, 0xbbc4, v81
	v_mul_f16_e32 v112, 0xb5ac, v85
	v_add_f16_e32 v49, v54, v102
	v_add_f16_e32 v28, v30, v28
	;; [unrolled: 1-line block ×4, first 2 shown]
	v_sub_f16_e32 v23, v105, v27
	v_pk_add_f16 v0, v3, v0
	v_mul_f16_e32 v81, 0x3b15, v81
	v_mul_f16_e32 v114, 0xb9fd, v85
	v_mul_f16_e32 v118, 0xb9fd, v89
	v_add_f16_e32 v48, v49, v48
	v_add_f16_e32 v49, v60, v108
	;; [unrolled: 1-line block ×5, first 2 shown]
	v_sub_f16_e32 v23, v111, v29
	v_pk_add_f16 v0, v6, v0
	v_mul_f16_e32 v85, 0x2fb7, v85
	v_mul_f16_e32 v120, 0x2fb7, v89
	;; [unrolled: 1-line block ×3, first 2 shown]
	v_add_f16_e32 v77, v77, v81
	v_add_f16_e32 v48, v49, v48
	v_add_f16_e32 v49, v66, v114
	v_add_f16_e32 v28, v30, v28
	v_add_f16_e32 v30, v65, v118
	v_add_f16_e32 v19, v23, v19
	v_sub_f16_e32 v23, v117, v31
	v_pk_add_f16 v0, v7, v0
	v_mul_f16_e32 v89, 0xbbc4, v89
	v_mul_f16_e32 v71, 0x3b15, v91
	v_add_f16_e32 v67, v77, v67
	v_add_f16_e32 v77, v83, v85
	;; [unrolled: 1-line block ×7, first 2 shown]
	v_sub_f16_e32 v23, v123, v36
	v_pk_add_f16 v0, v10, v0
	v_mul_f16_e32 v91, 0x388b, v91
	v_add_f16_e32 v67, v77, v67
	v_add_f16_e32 v77, v87, v89
	;; [unrolled: 1-line block ×6, first 2 shown]
	v_pk_add_f16 v0, v11, v0
	v_add_f16_e32 v67, v77, v67
	v_add_f16_e32 v77, v92, v91
	;; [unrolled: 1-line block ×3, first 2 shown]
	v_add_lshl_u32 v1, v21, v38, 2
	v_pk_add_f16 v0, v15, v0
	v_pack_b32_f16 v2, v19, v28
	v_add_f16_e32 v67, v77, v67
	ds_write2_b32 v1, v0, v2 offset1:1
	v_pack_b32_f16 v0, v40, v26
	v_pack_b32_f16 v2, v22, v48
	s_mov_b32 s4, 0x5040100
	ds_write2_b32 v1, v2, v0 offset0:2 offset1:3
	v_pack_b32_f16 v0, v25, v67
	v_perm_b32 v2, v24, v14, s4
	s_mov_b32 s5, 0xffff
	ds_write2_b32 v1, v0, v2 offset0:4 offset1:5
	v_bfi_b32 v0, s5, v12, v47
	v_bfi_b32 v2, s5, v47, v12
	ds_write2_b32 v1, v2, v0 offset0:6 offset1:7
	v_perm_b32 v0, v45, v44, s4
	v_perm_b32 v2, v46, v13, s4
	ds_write2_b32 v1, v2, v0 offset0:8 offset1:9
	v_perm_b32 v0, v42, v17, s4
	v_perm_b32 v2, v43, v20, s4
	ds_write2_b32 v1, v2, v0 offset0:10 offset1:11
	v_perm_b32 v0, v41, v18, s4
	ds_write_b32 v1, v0 offset:48
.LBB0_7:
	s_or_b64 exec, exec, s[0:1]
	v_add_lshl_u32 v37, v21, v34, 2
	v_add_u32_e32 v0, 0x200, v37
	s_waitcnt lgkmcnt(0)
	s_barrier
	ds_read2_b32 v[8:9], v37 offset1:117
	ds_read2_b32 v[10:11], v0 offset0:106 offset1:223
	ds_read_b32 v19, v37 offset:1872
	v_cmp_gt_u16_e64 s[0:1], 52, v34
	v_lshrrev_b32_e32 v22, 16, v12
	s_and_saveexec_b64 s[4:5], s[0:1]
	s_cbranch_execz .LBB0_9
; %bb.8:
	v_add_u32_e32 v0, 0x400, v37
	ds_read2_b32 v[14:15], v37 offset0:65 offset1:182
	ds_read2_b32 v[12:13], v0 offset0:43 offset1:160
	ds_read_b32 v44, v37 offset:2132
	s_mov_b32 s10, 0xffff
	s_waitcnt lgkmcnt(2)
	v_lshrrev_b32_e32 v24, 16, v14
	v_lshrrev_b32_e32 v22, 16, v15
	s_waitcnt lgkmcnt(1)
	v_lshrrev_b32_e32 v46, 16, v13
	s_waitcnt lgkmcnt(0)
	v_lshrrev_b32_e32 v45, 16, v44
	v_bfi_b32 v47, s10, v15, v12
.LBB0_9:
	s_or_b64 exec, exec, s[4:5]
	s_movk_i32 s4, 0x4f
	v_mul_lo_u16_sdwa v0, v34, s4 dst_sel:DWORD dst_unused:UNUSED_PAD src0_sel:BYTE_0 src1_sel:DWORD
	v_lshrrev_b16_e32 v32, 10, v0
	v_mul_lo_u16_e32 v0, 13, v32
	v_sub_u16_e32 v36, v34, v0
	v_mov_b32_e32 v0, 4
	v_lshlrev_b32_sdwa v1, v0, v36 dst_sel:DWORD dst_unused:UNUSED_PAD src0_sel:DWORD src1_sel:BYTE_0
	global_load_dwordx4 v[4:7], v1, s[2:3]
	v_add_u16_e32 v1, 0x41, v34
	v_mul_lo_u16_sdwa v2, v1, s4 dst_sel:DWORD dst_unused:UNUSED_PAD src0_sel:BYTE_0 src1_sel:DWORD
	v_lshrrev_b16_e32 v39, 10, v2
	v_mul_lo_u16_e32 v2, 13, v39
	v_sub_u16_e32 v40, v1, v2
	v_lshlrev_b32_sdwa v0, v0, v40 dst_sel:DWORD dst_unused:UNUSED_PAD src0_sel:DWORD src1_sel:BYTE_0
	global_load_dwordx4 v[0:3], v0, s[2:3]
	s_waitcnt lgkmcnt(2)
	v_lshrrev_b32_e32 v15, 16, v9
	s_waitcnt lgkmcnt(1)
	v_lshrrev_b32_e32 v23, 16, v10
	v_lshrrev_b32_e32 v26, 16, v11
	s_waitcnt lgkmcnt(0)
	v_lshrrev_b32_e32 v27, 16, v19
	v_lshrrev_b32_e32 v28, 16, v47
	;; [unrolled: 1-line block ×3, first 2 shown]
	s_movk_i32 s15, 0x3b9c
	s_mov_b32 s17, 0xbb9c
	s_movk_i32 s14, 0x38b4
	s_mov_b32 s18, 0xb8b4
	s_movk_i32 s16, 0x34f2
	s_load_dwordx4 s[8:11], s[8:9], 0x0
	v_mul_u32_u24_e32 v32, 0x41, v32
	v_add_u32_sdwa v32, v32, v36 dst_sel:DWORD dst_unused:UNUSED_PAD src0_sel:DWORD src1_sel:BYTE_0
	s_waitcnt vmcnt(0) lgkmcnt(0)
	s_barrier
	v_mul_f16_sdwa v29, v15, v4 dst_sel:DWORD dst_unused:UNUSED_PAD src0_sel:DWORD src1_sel:WORD_1
	v_mul_f16_sdwa v31, v23, v5 dst_sel:DWORD dst_unused:UNUSED_PAD src0_sel:DWORD src1_sel:WORD_1
	v_mul_f16_sdwa v49, v26, v6 dst_sel:DWORD dst_unused:UNUSED_PAD src0_sel:DWORD src1_sel:WORD_1
	v_mul_f16_sdwa v51, v27, v7 dst_sel:DWORD dst_unused:UNUSED_PAD src0_sel:DWORD src1_sel:WORD_1
	v_mul_f16_sdwa v30, v9, v4 dst_sel:DWORD dst_unused:UNUSED_PAD src0_sel:DWORD src1_sel:WORD_1
	v_mul_f16_sdwa v48, v10, v5 dst_sel:DWORD dst_unused:UNUSED_PAD src0_sel:DWORD src1_sel:WORD_1
	v_mul_f16_sdwa v50, v11, v6 dst_sel:DWORD dst_unused:UNUSED_PAD src0_sel:DWORD src1_sel:WORD_1
	v_mul_f16_sdwa v52, v19, v7 dst_sel:DWORD dst_unused:UNUSED_PAD src0_sel:DWORD src1_sel:WORD_1
	v_mul_f16_sdwa v54, v47, v0 dst_sel:DWORD dst_unused:UNUSED_PAD src0_sel:DWORD src1_sel:WORD_1
	v_mul_f16_sdwa v55, v28, v1 dst_sel:DWORD dst_unused:UNUSED_PAD src0_sel:DWORD src1_sel:WORD_1
	v_mul_f16_sdwa v56, v12, v1 dst_sel:DWORD dst_unused:UNUSED_PAD src0_sel:DWORD src1_sel:WORD_1
	v_mul_f16_sdwa v59, v45, v3 dst_sel:DWORD dst_unused:UNUSED_PAD src0_sel:DWORD src1_sel:WORD_1
	v_fma_f16 v29, v9, v4, -v29
	v_fma_f16 v31, v10, v5, -v31
	;; [unrolled: 1-line block ×4, first 2 shown]
	v_mul_f16_sdwa v53, v22, v0 dst_sel:DWORD dst_unused:UNUSED_PAD src0_sel:DWORD src1_sel:WORD_1
	v_mul_f16_sdwa v57, v46, v2 dst_sel:DWORD dst_unused:UNUSED_PAD src0_sel:DWORD src1_sel:WORD_1
	;; [unrolled: 1-line block ×4, first 2 shown]
	v_fma_f16 v30, v15, v4, v30
	v_fma_f16 v48, v23, v5, v48
	;; [unrolled: 1-line block ×5, first 2 shown]
	v_fma_f16 v10, v12, v1, -v55
	v_fma_f16 v22, v28, v1, v56
	v_fma_f16 v12, v44, v3, -v59
	v_add_f16_e32 v28, v8, v29
	v_add_f16_e32 v44, v31, v49
	;; [unrolled: 1-line block ×3, first 2 shown]
	v_fma_f16 v9, v47, v0, -v53
	v_fma_f16 v11, v13, v2, -v57
	v_fma_f16 v13, v46, v2, v58
	v_fma_f16 v23, v45, v3, v60
	v_sub_f16_e32 v45, v30, v27
	v_sub_f16_e32 v46, v48, v26
	;; [unrolled: 1-line block ×6, first 2 shown]
	v_add_f16_e32 v54, v25, v30
	v_add_f16_e32 v28, v28, v31
	v_fma_f16 v44, v44, -0.5, v8
	v_fma_f16 v8, v51, -0.5, v8
	v_add_f16_e32 v55, v48, v26
	v_add_f16_e32 v47, v47, v50
	;; [unrolled: 1-line block ×5, first 2 shown]
	v_fma_f16 v53, v45, s15, v44
	v_fma_f16 v44, v45, s17, v44
	;; [unrolled: 1-line block ×4, first 2 shown]
	v_fma_f16 v52, v55, -0.5, v25
	v_add_f16_e32 v55, v28, v19
	v_fma_f16 v28, v46, s14, v53
	v_fma_f16 v44, v46, s18, v44
	;; [unrolled: 1-line block ×6, first 2 shown]
	v_sub_f16_e32 v8, v29, v19
	v_fma_f16 v53, v47, s16, v28
	v_fma_f16 v19, v8, s17, v52
	v_sub_f16_e32 v28, v31, v49
	v_sub_f16_e32 v29, v30, v48
	;; [unrolled: 1-line block ×3, first 2 shown]
	v_fma_f16 v19, v28, s18, v19
	v_add_f16_e32 v29, v29, v31
	v_fma_f16 v49, v29, s16, v19
	v_fma_f16 v19, v8, s15, v52
	;; [unrolled: 1-line block ×4, first 2 shown]
	v_add_f16_e32 v19, v30, v27
	v_fma_f16 v19, v19, -0.5, v25
	v_add_f16_e32 v51, v51, v26
	v_fma_f16 v25, v28, s15, v19
	v_fma_f16 v19, v28, s17, v19
	v_add_f16_e32 v51, v51, v27
	v_fma_f16 v25, v8, s18, v25
	v_sub_f16_e32 v26, v26, v27
	v_fma_f16 v8, v8, s14, v19
	v_sub_f16_e32 v19, v9, v10
	v_sub_f16_e32 v27, v12, v11
	;; [unrolled: 1-line block ×3, first 2 shown]
	v_add_f16_e32 v30, v19, v27
	v_add_f16_e32 v27, v22, v13
	v_fma_f16 v47, v47, s16, v44
	v_add_f16_e32 v26, v29, v26
	v_fma_f16 v27, v27, -0.5, v24
	v_sub_f16_e32 v28, v9, v12
	v_sub_f16_e32 v31, v15, v22
	;; [unrolled: 1-line block ×3, first 2 shown]
	v_fma_f16 v54, v26, s16, v8
	v_add_f16_e32 v8, v10, v11
	v_sub_f16_e32 v29, v10, v11
	v_add_f16_e32 v31, v31, v44
	v_fma_f16 v44, v28, s15, v27
	v_fma_f16 v48, v26, s16, v25
	v_fma_f16 v8, v8, -0.5, v14
	v_sub_f16_e32 v25, v15, v23
	v_fma_f16 v44, v29, s14, v44
	v_sub_f16_e32 v26, v22, v13
	v_fma_f16 v19, v25, s17, v8
	v_fma_f16 v45, v31, s16, v44
	v_add_lshl_u32 v44, v21, v32, 2
	v_pack_b32_f16 v32, v55, v51
	v_pack_b32_f16 v36, v53, v49
	v_fma_f16 v19, v26, s18, v19
	ds_write2_b32 v44, v32, v36 offset1:13
	v_pack_b32_f16 v32, v46, v48
	v_pack_b32_f16 v36, v50, v54
	v_fma_f16 v19, v30, s16, v19
	ds_write2_b32 v44, v32, v36 offset0:26 offset1:39
	v_pack_b32_f16 v32, v47, v52
	ds_write_b32 v44, v32 offset:208
	s_and_saveexec_b64 s[4:5], s[0:1]
	s_cbranch_execz .LBB0_11
; %bb.10:
	v_sub_f16_e32 v51, v10, v9
	v_sub_f16_e32 v52, v11, v12
	v_add_f16_e32 v51, v51, v52
	v_add_f16_e32 v52, v9, v12
	v_sub_f16_e32 v48, v22, v15
	v_sub_f16_e32 v49, v13, v23
	v_fma_f16 v52, v52, -0.5, v14
	v_mul_f16_e32 v32, 0x3b9c, v25
	v_mul_f16_e32 v36, 0x38b4, v26
	;; [unrolled: 1-line block ×3, first 2 shown]
	v_add_f16_e32 v48, v48, v49
	v_add_f16_e32 v49, v15, v23
	v_fma_f16 v53, v26, s15, v52
	v_fma_f16 v26, v26, s17, v52
	v_add_f16_e32 v15, v24, v15
	v_add_f16_e32 v9, v14, v9
	v_mul_f16_e32 v47, 0x38b4, v29
	v_fma_f16 v49, v49, -0.5, v24
	v_fma_f16 v53, v25, s18, v53
	v_fma_f16 v25, v25, s14, v26
	v_sub_f16_e32 v26, v27, v46
	v_add_f16_e32 v8, v8, v32
	v_add_f16_e32 v15, v15, v22
	;; [unrolled: 1-line block ×3, first 2 shown]
	v_mul_f16_e32 v30, 0x34f2, v30
	v_mul_f16_e32 v31, 0x34f2, v31
	v_fma_f16 v50, v29, s17, v49
	v_fma_f16 v29, v29, s15, v49
	v_sub_f16_e32 v26, v26, v47
	v_add_f16_e32 v8, v36, v8
	v_add_f16_e32 v13, v15, v13
	;; [unrolled: 1-line block ×3, first 2 shown]
	v_mul_u32_u24_e32 v10, 0x41, v39
	v_fma_f16 v50, v28, s14, v50
	v_fma_f16 v28, v28, s18, v29
	v_add_f16_e32 v26, v31, v26
	v_add_f16_e32 v8, v30, v8
	;; [unrolled: 1-line block ×4, first 2 shown]
	v_add_u32_sdwa v10, v10, v40 dst_sel:DWORD dst_unused:UNUSED_PAD src0_sel:DWORD src1_sel:BYTE_0
	v_fma_f16 v50, v48, s16, v50
	v_fma_f16 v53, v51, s16, v53
	;; [unrolled: 1-line block ×4, first 2 shown]
	v_add_lshl_u32 v10, v21, v10, 2
	v_pack_b32_f16 v9, v9, v13
	v_pack_b32_f16 v8, v8, v26
	ds_write2_b32 v10, v9, v8 offset1:13
	v_pack_b32_f16 v8, v25, v28
	v_pack_b32_f16 v9, v53, v50
	s_mov_b32 s14, 0x5040100
	ds_write2_b32 v10, v8, v9 offset0:26 offset1:39
	v_perm_b32 v8, v45, v19, s14
	ds_write_b32 v10, v8 offset:208
.LBB0_11:
	s_or_b64 exec, exec, s[4:5]
	v_lshlrev_b32_e32 v21, 5, v34
	s_waitcnt lgkmcnt(0)
	s_barrier
	global_load_dwordx4 v[8:11], v21, s[2:3] offset:208
	global_load_dwordx4 v[12:15], v21, s[2:3] offset:224
	v_add_u32_e32 v23, 0x200, v37
	v_add_u32_e32 v25, 0x400, v37
	;; [unrolled: 1-line block ×3, first 2 shown]
	ds_read_b32 v29, v37
	ds_read2_b32 v[21:22], v37 offset0:65 offset1:130
	ds_read2_b32 v[23:24], v23 offset0:67 offset1:132
	;; [unrolled: 1-line block ×4, first 2 shown]
	s_movk_i32 s5, 0x3a21
	s_movk_i32 s2, 0x3be1
	s_waitcnt lgkmcnt(2)
	v_lshrrev_b32_e32 v36, 16, v23
	v_lshrrev_b32_e32 v31, 16, v21
	s_waitcnt lgkmcnt(1)
	v_lshrrev_b32_e32 v47, 16, v25
	s_waitcnt lgkmcnt(0)
	v_lshrrev_b32_e32 v50, 16, v28
	v_lshrrev_b32_e32 v32, 16, v22
	;; [unrolled: 1-line block ×5, first 2 shown]
	s_movk_i32 s14, 0x318f
	v_lshrrev_b32_e32 v30, 16, v29
	s_movk_i32 s3, 0x3aee
	s_movk_i32 s4, 0x3579
	s_mov_b32 s15, 0xbb84
	s_mov_b32 s16, 0xb924
	s_waitcnt vmcnt(1)
	v_mul_f16_sdwa v51, v31, v8 dst_sel:DWORD dst_unused:UNUSED_PAD src0_sel:DWORD src1_sel:WORD_1
	v_mul_f16_sdwa v52, v21, v8 dst_sel:DWORD dst_unused:UNUSED_PAD src0_sel:DWORD src1_sel:WORD_1
	;; [unrolled: 1-line block ×3, first 2 shown]
	s_waitcnt vmcnt(0)
	v_mul_f16_sdwa v59, v47, v12 dst_sel:DWORD dst_unused:UNUSED_PAD src0_sel:DWORD src1_sel:WORD_1
	v_mul_f16_sdwa v62, v26, v13 dst_sel:DWORD dst_unused:UNUSED_PAD src0_sel:DWORD src1_sel:WORD_1
	;; [unrolled: 1-line block ×12, first 2 shown]
	v_fma_f16 v21, v21, v8, -v51
	v_fma_f16 v31, v31, v8, v52
	v_fma_f16 v23, v23, v10, -v55
	v_fma_f16 v55, v25, v12, -v59
	v_fma_f16 v25, v48, v13, v62
	v_fma_f16 v28, v28, v15, -v65
	v_fma_f16 v48, v50, v15, v66
	v_mul_f16_sdwa v58, v24, v11 dst_sel:DWORD dst_unused:UNUSED_PAD src0_sel:DWORD src1_sel:WORD_1
	v_fma_f16 v22, v22, v9, -v53
	v_fma_f16 v32, v32, v9, v54
	v_fma_f16 v36, v36, v10, v56
	v_fma_f16 v54, v24, v11, -v57
	v_fma_f16 v24, v26, v13, -v61
	;; [unrolled: 1-line block ×3, first 2 shown]
	v_fma_f16 v27, v49, v14, v64
	v_add_f16_e32 v56, v21, v28
	v_add_f16_e32 v57, v31, v48
	v_sub_f16_e32 v62, v21, v28
	v_sub_f16_e32 v31, v31, v48
	v_fma_f16 v46, v46, v11, v58
	v_fma_f16 v47, v47, v12, v60
	v_add_f16_e32 v58, v22, v26
	v_add_f16_e32 v59, v32, v27
	v_add_f16_e32 v60, v23, v24
	v_sub_f16_e32 v26, v22, v26
	v_sub_f16_e32 v27, v32, v27
	v_sub_f16_e32 v32, v23, v24
	v_mul_f16_e32 v21, 0x3924, v62
	v_mul_f16_e32 v22, 0x3924, v31
	v_fma_f16 v23, v56, s5, v29
	v_add_f16_e32 v61, v36, v25
	v_sub_f16_e32 v36, v36, v25
	v_fma_f16 v24, v57, s5, v30
	v_fma_f16 v21, v26, s2, v21
	;; [unrolled: 1-line block ×4, first 2 shown]
	v_sub_f16_e32 v63, v54, v55
	v_sub_f16_e32 v64, v46, v47
	v_fma_f16 v24, v59, s14, v24
	v_fma_f16 v21, v32, s3, v21
	;; [unrolled: 1-line block ×3, first 2 shown]
	v_fma_f16 v23, v60, -0.5, v23
	v_add_f16_e32 v65, v54, v55
	v_fma_f16 v24, v61, -0.5, v24
	v_fma_f16 v25, v63, s4, v21
	v_fma_f16 v22, v64, s4, v22
	v_add_f16_e32 v66, v46, v47
	v_fma_f16 v21, v65, s15, v23
	v_fma_f16 v23, v66, s15, v24
	v_add_f16_e32 v21, v22, v21
	v_sub_f16_e32 v48, v23, v25
	v_fma_f16 v24, v22, -2.0, v21
	v_mul_f16_e32 v22, 0xb924, v63
	v_mul_f16_e32 v23, 0xb924, v64
	v_fma_f16 v28, v66, s5, v30
	v_fma_f16 v22, v62, s2, v22
	;; [unrolled: 1-line block ×3, first 2 shown]
	s_mov_b32 s2, 0xbaee
	v_fma_f16 v28, v57, s14, v28
	v_fma_f16 v22, v32, s2, v22
	v_fma_f16 v28, v61, -0.5, v28
	v_fma_f16 v50, v25, 2.0, v48
	v_fma_f16 v25, v26, s4, v22
	v_fma_f16 v28, v59, s15, v28
	v_sub_f16_e32 v49, v28, v25
	v_fma_f16 v52, v25, 2.0, v49
	v_add_f16_e32 v25, v63, v62
	v_mul_f16_e32 v63, 0x3be1, v63
	v_sub_f16_e32 v51, v25, v26
	v_fma_f16 v26, v26, s16, -v63
	v_fma_f16 v23, v36, s2, v23
	v_add_f16_e32 v28, v64, v31
	v_add_f16_e32 v69, v58, v56
	v_mul_f16_e32 v64, 0x3be1, v64
	v_fma_f16 v26, v32, s3, v26
	v_fma_f16 v23, v27, s4, v23
	v_sub_f16_e32 v25, v28, v27
	v_fma_f16 v27, v27, s16, -v64
	v_fma_f16 v32, v62, s4, v26
	v_add_f16_e32 v26, v60, v69
	v_add_f16_e32 v70, v59, v57
	v_fma_f16 v27, v36, s3, v27
	v_add_f16_e32 v26, v54, v26
	v_fma_f16 v27, v31, s4, v27
	v_add_f16_e32 v31, v61, v70
	v_add_f16_e32 v26, v55, v26
	v_fma_f16 v22, v65, s5, v29
	v_add_f16_e32 v67, v60, v29
	v_add_f16_e32 v31, v46, v31
	;; [unrolled: 1-line block ×3, first 2 shown]
	v_fma_f16 v26, v58, s5, v29
	v_fma_f16 v29, v59, s5, v30
	;; [unrolled: 1-line block ×4, first 2 shown]
	v_fma_f16 v22, v60, -0.5, v22
	v_add_f16_e32 v31, v47, v31
	v_fma_f16 v26, v65, s14, v26
	v_fma_f16 v29, v61, -0.5, v29
	v_fma_f16 v22, v58, s15, v22
	v_add_f16_e32 v68, v61, v30
	v_add_f16_e32 v71, v65, v69
	;; [unrolled: 1-line block ×4, first 2 shown]
	v_fma_f16 v26, v60, -0.5, v26
	v_fma_f16 v29, v57, s15, v29
	v_add_f16_e32 v22, v23, v22
	v_fma_f16 v67, v71, -0.5, v67
	v_fma_f16 v68, v72, -0.5, v68
	v_fma_f16 v26, v56, s15, v26
	v_sub_f16_e32 v54, v29, v32
	v_lshl_add_u32 v36, v34, 2, v35
	v_pack_b32_f16 v29, v46, v47
	v_mul_f16_e32 v53, 0x3aee, v51
	v_mul_f16_e32 v28, 0x3aee, v25
	v_fma_f16 v25, v25, s3, v67
	v_fma_f16 v51, v51, s2, v68
	v_add_f16_e32 v26, v27, v26
	ds_write_b32 v36, v29
	v_pack_b32_f16 v29, v21, v48
	v_pack_b32_f16 v30, v22, v49
	v_fma_f16 v28, v28, -2.0, v25
	v_fma_f16 v53, v53, 2.0, v51
	v_fma_f16 v27, v27, -2.0, v26
	v_fma_f16 v55, v32, 2.0, v54
	ds_write2_b32 v36, v29, v30 offset0:65 offset1:130
	v_pack_b32_f16 v29, v25, v51
	v_pack_b32_f16 v31, v26, v54
	v_add_u32_e32 v30, 0x200, v36
	v_fma_f16 v23, v23, -2.0, v22
	ds_write2_b32 v30, v29, v31 offset0:67 offset1:132
	v_pack_b32_f16 v29, v27, v55
	v_pack_b32_f16 v32, v28, v53
	v_add_u32_e32 v31, 0x400, v36
	ds_write2_b32 v31, v29, v32 offset0:69 offset1:134
	v_pack_b32_f16 v32, v23, v52
	v_pack_b32_f16 v56, v24, v50
	v_add_u32_e32 v29, 0x600, v36
	ds_write2_b32 v29, v32, v56 offset0:71 offset1:136
	s_waitcnt lgkmcnt(0)
	s_barrier
	s_and_saveexec_b64 s[2:3], vcc
	s_cbranch_execz .LBB0_13
; %bb.12:
	global_load_dword v32, v33, s[6:7] offset:2340
	s_add_u32 s4, s6, 0x924
	s_addc_u32 s5, s7, 0
	global_load_dword v68, v33, s[4:5] offset:180
	global_load_dword v69, v33, s[4:5] offset:360
	;; [unrolled: 1-line block ×10, first 2 shown]
	ds_read_b32 v56, v36
	global_load_dword v78, v33, s[4:5] offset:1980
	global_load_dword v79, v33, s[4:5] offset:2160
	s_waitcnt lgkmcnt(0)
	v_lshrrev_b32_e32 v57, 16, v56
	s_waitcnt vmcnt(12)
	v_mul_f16_sdwa v58, v57, v32 dst_sel:DWORD dst_unused:UNUSED_PAD src0_sel:DWORD src1_sel:WORD_1
	v_mul_f16_sdwa v59, v56, v32 dst_sel:DWORD dst_unused:UNUSED_PAD src0_sel:DWORD src1_sel:WORD_1
	v_fma_f16 v56, v56, v32, -v58
	v_fma_f16 v32, v57, v32, v59
	v_pack_b32_f16 v32, v56, v32
	ds_write_b32 v36, v32
	ds_read2_b32 v[56:57], v36 offset0:45 offset1:90
	ds_read2_b32 v[58:59], v36 offset0:135 offset1:180
	;; [unrolled: 1-line block ×6, first 2 shown]
	s_waitcnt lgkmcnt(5)
	v_lshrrev_b32_e32 v32, 16, v56
	s_waitcnt vmcnt(11)
	v_mul_f16_sdwa v80, v56, v68 dst_sel:DWORD dst_unused:UNUSED_PAD src0_sel:DWORD src1_sel:WORD_1
	v_lshrrev_b32_e32 v81, 16, v57
	s_waitcnt vmcnt(10)
	v_mul_f16_sdwa v82, v57, v69 dst_sel:DWORD dst_unused:UNUSED_PAD src0_sel:DWORD src1_sel:WORD_1
	s_waitcnt lgkmcnt(4)
	v_lshrrev_b32_e32 v83, 16, v58
	s_waitcnt vmcnt(9)
	v_mul_f16_sdwa v84, v58, v70 dst_sel:DWORD dst_unused:UNUSED_PAD src0_sel:DWORD src1_sel:WORD_1
	v_lshrrev_b32_e32 v85, 16, v59
	s_waitcnt vmcnt(8)
	v_mul_f16_sdwa v86, v59, v71 dst_sel:DWORD dst_unused:UNUSED_PAD src0_sel:DWORD src1_sel:WORD_1
	;; [unrolled: 7-line block ×4, first 2 shown]
	s_waitcnt lgkmcnt(1)
	v_lshrrev_b32_e32 v95, 16, v64
	s_waitcnt vmcnt(3)
	v_mul_f16_sdwa v96, v64, v76 dst_sel:DWORD dst_unused:UNUSED_PAD src0_sel:DWORD src1_sel:WORD_1
	v_lshrrev_b32_e32 v97, 16, v65
	v_mul_f16_sdwa v99, v32, v68 dst_sel:DWORD dst_unused:UNUSED_PAD src0_sel:DWORD src1_sel:WORD_1
	v_fma_f16 v32, v32, v68, v80
	v_mul_f16_sdwa v80, v81, v69 dst_sel:DWORD dst_unused:UNUSED_PAD src0_sel:DWORD src1_sel:WORD_1
	s_waitcnt vmcnt(2)
	v_mul_f16_sdwa v98, v65, v77 dst_sel:DWORD dst_unused:UNUSED_PAD src0_sel:DWORD src1_sel:WORD_1
	v_fma_f16 v81, v81, v69, v82
	v_mul_f16_sdwa v82, v83, v70 dst_sel:DWORD dst_unused:UNUSED_PAD src0_sel:DWORD src1_sel:WORD_1
	v_fma_f16 v83, v83, v70, v84
	;; [unrolled: 2-line block ×8, first 2 shown]
	v_mul_f16_sdwa v96, v97, v77 dst_sel:DWORD dst_unused:UNUSED_PAD src0_sel:DWORD src1_sel:WORD_1
	v_fma_f16 v56, v56, v68, -v99
	v_fma_f16 v57, v57, v69, -v80
	v_fma_f16 v97, v97, v77, v98
	v_fma_f16 v58, v58, v70, -v82
	v_fma_f16 v59, v59, v71, -v84
	;; [unrolled: 1-line block ×8, first 2 shown]
	v_pack_b32_f16 v32, v56, v32
	v_pack_b32_f16 v56, v57, v81
	;; [unrolled: 1-line block ×10, first 2 shown]
	ds_write2_b32 v36, v32, v56 offset0:45 offset1:90
	ds_write2_b32 v36, v57, v58 offset0:135 offset1:180
	;; [unrolled: 1-line block ×5, first 2 shown]
	s_waitcnt lgkmcnt(5)
	v_lshrrev_b32_e32 v30, 16, v66
	s_waitcnt vmcnt(1)
	v_mul_f16_sdwa v31, v30, v78 dst_sel:DWORD dst_unused:UNUSED_PAD src0_sel:DWORD src1_sel:WORD_1
	v_mul_f16_sdwa v32, v66, v78 dst_sel:DWORD dst_unused:UNUSED_PAD src0_sel:DWORD src1_sel:WORD_1
	v_fma_f16 v31, v66, v78, -v31
	v_fma_f16 v30, v30, v78, v32
	v_pack_b32_f16 v30, v31, v30
	v_lshrrev_b32_e32 v31, 16, v67
	s_waitcnt vmcnt(0)
	v_mul_f16_sdwa v32, v31, v79 dst_sel:DWORD dst_unused:UNUSED_PAD src0_sel:DWORD src1_sel:WORD_1
	v_mul_f16_sdwa v56, v67, v79 dst_sel:DWORD dst_unused:UNUSED_PAD src0_sel:DWORD src1_sel:WORD_1
	v_fma_f16 v32, v67, v79, -v32
	v_fma_f16 v31, v31, v79, v56
	v_pack_b32_f16 v31, v32, v31
	ds_write2_b32 v29, v30, v31 offset0:111 offset1:156
.LBB0_13:
	s_or_b64 exec, exec, s[2:3]
	s_waitcnt lgkmcnt(0)
	s_barrier
	s_and_saveexec_b64 s[2:3], vcc
	s_cbranch_execz .LBB0_15
; %bb.14:
	v_add_u32_e32 v17, 0x200, v36
	ds_read_b32 v46, v36
	ds_read2_b32 v[21:22], v36 offset0:45 offset1:90
	ds_read2_b32 v[25:26], v36 offset0:135 offset1:180
	;; [unrolled: 1-line block ×3, first 2 shown]
	v_add_u32_e32 v17, 0x400, v36
	ds_read2_b32 v[23:24], v17 offset0:59 offset1:104
	ds_read2_b32 v[19:20], v17 offset0:149 offset1:194
	v_add_u32_e32 v17, 0x600, v36
	ds_read2_b32 v[17:18], v17 offset0:111 offset1:156
	s_waitcnt lgkmcnt(6)
	v_lshrrev_b32_e32 v47, 16, v46
	s_waitcnt lgkmcnt(5)
	v_lshrrev_b32_e32 v48, 16, v21
	v_lshrrev_b32_e32 v49, 16, v22
	s_waitcnt lgkmcnt(4)
	v_lshrrev_b32_e32 v51, 16, v25
	;; [unrolled: 3-line block ×6, first 2 shown]
	v_lshrrev_b32_e32 v41, 16, v18
.LBB0_15:
	s_or_b64 exec, exec, s[2:3]
	v_sub_f16_e32 v69, v48, v41
	v_add_f16_e32 v62, v18, v21
	v_add_f16_e32 v71, v41, v48
	s_mov_b32 s4, 0xb5ac
	v_mul_f16_e32 v81, 0xbb7b, v69
	v_sub_f16_e32 v73, v49, v42
	v_sub_f16_e32 v63, v21, v18
	s_mov_b32 s14, 0xbb7b
	v_mul_f16_e32 v83, 0xb5ac, v71
	v_fma_f16 v29, v62, s4, -v81
	s_mov_b32 s5, 0xb9fd
	v_add_f16_e32 v64, v17, v22
	v_add_f16_e32 v75, v42, v49
	v_mul_f16_e32 v85, 0x394e, v73
	v_add_f16_e32 v29, v46, v29
	v_fma_f16 v30, v63, s14, v83
	s_movk_i32 s19, 0x394e
	v_sub_f16_e32 v65, v22, v17
	v_mul_f16_e32 v87, 0xb9fd, v75
	v_fma_f16 v66, v64, s5, -v85
	v_add_f16_e32 v30, v47, v30
	v_mul_f16_e32 v31, 0xb94e, v69
	v_add_f16_e32 v29, v66, v29
	v_fma_f16 v66, v65, s19, v87
	v_fma_f16 v32, v62, s5, v31
	v_add_f16_e32 v30, v66, v30
	v_mul_f16_e32 v66, 0x3bf1, v73
	s_movk_i32 s18, 0x2fb7
	s_mov_b32 s15, 0xb94e
	v_add_f16_e32 v32, v46, v32
	v_mul_f16_e32 v56, 0xb9fd, v71
	v_fma_f16 v31, v62, s5, -v31
	v_fma_f16 v67, v64, s18, v66
	v_fma_f16 v57, v63, s19, v56
	v_add_f16_e32 v31, v46, v31
	v_fma_f16 v56, v63, s15, v56
	s_movk_i32 s22, 0x3bf1
	v_add_f16_e32 v32, v67, v32
	v_mul_f16_e32 v67, 0x2fb7, v75
	v_fma_f16 v66, v64, s18, -v66
	v_add_f16_e32 v56, v47, v56
	v_mul_f16_e32 v58, 0xb3a8, v69
	s_mov_b32 s16, 0xbbc4
	v_add_f16_e32 v31, v66, v31
	v_fma_f16 v66, v65, s22, v67
	v_fma_f16 v59, v62, s16, v58
	s_mov_b32 s20, 0xbbf1
	v_add_f16_e32 v56, v66, v56
	v_mul_f16_e32 v66, 0x3770, v73
	s_movk_i32 s21, 0x3b15
	s_mov_b32 s17, 0xb3a8
	v_add_f16_e32 v59, v46, v59
	v_mul_f16_e32 v60, 0xbbc4, v71
	s_movk_i32 s27, 0x33a8
	v_fma_f16 v58, v62, s16, -v58
	v_fma_f16 v68, v65, s20, v67
	v_fma_f16 v67, v64, s21, v66
	;; [unrolled: 1-line block ×3, first 2 shown]
	v_add_f16_e32 v58, v46, v58
	v_fma_f16 v60, v63, s17, v60
	s_movk_i32 s25, 0x3770
	v_add_f16_e32 v59, v67, v59
	v_mul_f16_e32 v67, 0x3b15, v75
	v_fma_f16 v66, v64, s21, -v66
	v_add_f16_e32 v57, v47, v57
	v_add_f16_e32 v60, v47, v60
	s_mov_b32 s23, 0xb770
	v_add_f16_e32 v58, v66, v58
	v_fma_f16 v66, v65, s25, v67
	v_sub_f16_e32 v78, v51, v43
	v_add_f16_e32 v61, v47, v61
	v_add_f16_e32 v57, v68, v57
	v_fma_f16 v68, v65, s23, v67
	v_add_f16_e32 v60, v66, v60
	v_add_f16_e32 v66, v20, v25
	;; [unrolled: 1-line block ×3, first 2 shown]
	v_mul_f16_e32 v90, 0x3770, v78
	v_add_f16_e32 v61, v68, v61
	v_sub_f16_e32 v67, v25, v20
	v_mul_f16_e32 v91, 0x3b15, v79
	v_fma_f16 v68, v66, s21, -v90
	v_add_f16_e32 v29, v68, v29
	v_fma_f16 v68, v67, s25, v91
	v_add_f16_e32 v30, v68, v30
	v_mul_f16_e32 v68, 0xba95, v78
	s_movk_i32 s24, 0x388b
	v_fma_f16 v70, v66, s24, v68
	s_mov_b32 s26, 0xba95
	v_add_f16_e32 v32, v70, v32
	v_mul_f16_e32 v70, 0x388b, v79
	v_fma_f16 v68, v66, s24, -v68
	v_add_f16_e32 v31, v68, v31
	v_fma_f16 v68, v67, s26, v70
	s_movk_i32 s28, 0x3a95
	v_add_f16_e32 v56, v68, v56
	v_mul_f16_e32 v68, 0xb94e, v78
	v_fma_f16 v72, v67, s28, v70
	v_fma_f16 v70, v66, s5, v68
	v_add_f16_e32 v59, v70, v59
	v_mul_f16_e32 v70, 0xb9fd, v79
	v_fma_f16 v68, v66, s5, -v68
	v_add_f16_e32 v58, v68, v58
	v_fma_f16 v68, v67, s15, v70
	v_sub_f16_e32 v80, v54, v45
	v_add_f16_e32 v57, v72, v57
	v_fma_f16 v72, v67, s19, v70
	v_add_f16_e32 v60, v68, v60
	v_add_f16_e32 v68, v19, v26
	;; [unrolled: 1-line block ×3, first 2 shown]
	v_mul_f16_e32 v92, 0xbbf1, v80
	v_add_f16_e32 v61, v72, v61
	v_sub_f16_e32 v70, v26, v19
	v_mul_f16_e32 v93, 0x2fb7, v82
	v_fma_f16 v72, v68, s18, -v92
	v_add_f16_e32 v29, v72, v29
	v_fma_f16 v72, v70, s20, v93
	v_add_f16_e32 v30, v72, v30
	v_mul_f16_e32 v72, 0x33a8, v80
	v_fma_f16 v74, v68, s16, v72
	v_add_f16_e32 v32, v74, v32
	v_mul_f16_e32 v74, 0xbbc4, v82
	v_fma_f16 v72, v68, s16, -v72
	v_add_f16_e32 v31, v72, v31
	v_fma_f16 v72, v70, s27, v74
	v_add_f16_e32 v56, v72, v56
	v_mul_f16_e32 v72, 0x3a95, v80
	v_fma_f16 v76, v70, s17, v74
	v_fma_f16 v74, v68, s24, v72
	v_add_f16_e32 v59, v74, v59
	v_mul_f16_e32 v74, 0x388b, v82
	v_fma_f16 v72, v68, s24, -v72
	v_add_f16_e32 v58, v72, v58
	v_fma_f16 v72, v70, s28, v74
	v_sub_f16_e32 v84, v55, v50
	v_add_f16_e32 v57, v76, v57
	v_fma_f16 v76, v70, s26, v74
	v_add_f16_e32 v60, v72, v60
	v_add_f16_e32 v72, v24, v27
	;; [unrolled: 1-line block ×3, first 2 shown]
	v_mul_f16_e32 v94, 0x33a8, v84
	v_add_f16_e32 v61, v76, v61
	v_sub_f16_e32 v74, v27, v24
	v_mul_f16_e32 v95, 0xbbc4, v86
	v_fma_f16 v76, v72, s16, -v94
	v_add_f16_e32 v29, v76, v29
	v_fma_f16 v76, v74, s27, v95
	v_add_f16_e32 v98, v76, v30
	v_mul_f16_e32 v30, 0x3770, v84
	v_fma_f16 v76, v72, s21, v30
	v_add_f16_e32 v32, v76, v32
	v_mul_f16_e32 v76, 0x3b15, v86
	v_fma_f16 v30, v72, s21, -v30
	v_add_f16_e32 v31, v30, v31
	v_fma_f16 v30, v74, s25, v76
	v_add_f16_e32 v99, v30, v56
	v_mul_f16_e32 v30, 0xbb7b, v84
	v_fma_f16 v56, v72, s4, v30
	v_add_f16_e32 v59, v56, v59
	v_mul_f16_e32 v56, 0xb5ac, v86
	s_movk_i32 s29, 0x3b7b
	v_fma_f16 v77, v74, s23, v76
	v_fma_f16 v76, v74, s29, v56
	v_fma_f16 v30, v72, s4, -v30
	v_sub_f16_e32 v88, v53, v52
	v_add_f16_e32 v61, v76, v61
	v_add_f16_e32 v100, v30, v58
	v_fma_f16 v30, v74, s14, v56
	v_add_f16_e32 v76, v23, v28
	v_add_f16_e32 v89, v52, v53
	v_mul_f16_e32 v96, 0x3a95, v88
	v_add_f16_e32 v57, v77, v57
	v_add_f16_e32 v101, v30, v60
	v_sub_f16_e32 v77, v28, v23
	v_mul_f16_e32 v97, 0x388b, v89
	v_fma_f16 v30, v76, s24, -v96
	v_add_f16_e32 v30, v30, v29
	v_fma_f16 v29, v77, s28, v97
	v_add_f16_e32 v58, v29, v98
	v_mul_f16_e32 v29, 0xbb7b, v88
	v_fma_f16 v56, v76, s4, v29
	v_add_f16_e32 v56, v56, v32
	v_mul_f16_e32 v32, 0xb5ac, v89
	v_fma_f16 v29, v76, s4, -v29
	v_fma_f16 v60, v77, s29, v32
	v_add_f16_e32 v29, v29, v31
	v_fma_f16 v31, v77, s14, v32
	v_mul_f16_e32 v32, 0x3bf1, v88
	v_add_f16_e32 v57, v60, v57
	v_add_f16_e32 v60, v31, v99
	v_fma_f16 v31, v76, s18, v32
	v_mul_f16_e32 v98, 0x2fb7, v89
	v_add_f16_e32 v31, v31, v59
	v_fma_f16 v59, v77, s20, v98
	v_add_f16_e32 v59, v59, v61
	v_fma_f16 v32, v76, s18, -v32
	v_fma_f16 v61, v77, s22, v98
	v_add_f16_e32 v32, v32, v100
	v_add_f16_e32 v61, v61, v101
	s_barrier
	s_and_saveexec_b64 s[2:3], vcc
	s_cbranch_execz .LBB0_17
; %bb.16:
	v_mul_f16_e32 v98, 0xb5ac, v62
	v_mul_f16_e32 v99, 0xbb7b, v63
	;; [unrolled: 1-line block ×3, first 2 shown]
	v_add_f16_e32 v81, v98, v81
	v_mul_f16_e32 v101, 0x394e, v65
	v_mul_f16_e32 v102, 0x3b15, v66
	v_sub_f16_e32 v83, v83, v99
	v_add_f16_e32 v81, v46, v81
	v_add_f16_e32 v85, v100, v85
	v_mul_f16_e32 v103, 0x3770, v67
	v_mul_f16_e32 v104, 0x2fb7, v68
	v_add_f16_e32 v83, v47, v83
	v_sub_f16_e32 v87, v87, v101
	v_add_f16_e32 v81, v85, v81
	v_add_f16_e32 v85, v102, v90
	v_mul_f16_e32 v105, 0xbbf1, v70
	v_mul_f16_e32 v106, 0xbbc4, v72
	v_add_f16_e32 v83, v87, v83
	;; [unrolled: 6-line block ×3, first 2 shown]
	v_sub_f16_e32 v87, v93, v105
	v_add_f16_e32 v81, v85, v81
	v_add_f16_e32 v85, v106, v94
	v_mul_f16_e32 v109, 0x3a95, v77
	v_add_f16_e32 v83, v87, v83
	v_sub_f16_e32 v87, v95, v107
	v_add_f16_e32 v81, v85, v81
	v_add_f16_e32 v85, v108, v96
	;; [unrolled: 1-line block ×3, first 2 shown]
	v_sub_f16_e32 v87, v97, v109
	v_add_f16_e32 v81, v85, v81
	v_mul_f16_e32 v85, 0x2fb7, v71
	v_add_f16_e32 v83, v87, v83
	v_fma_f16 v87, v63, s22, v85
	v_mul_f16_e32 v90, 0xbbc4, v75
	v_add_f16_e32 v87, v47, v87
	v_fma_f16 v91, v65, s27, v90
	v_add_f16_e32 v87, v91, v87
	v_mul_f16_e32 v91, 0xb5ac, v79
	v_fma_f16 v92, v67, s14, v91
	v_add_f16_e32 v87, v92, v87
	v_mul_f16_e32 v92, 0x3b15, v82
	;; [unrolled: 3-line block ×5, first 2 shown]
	v_add_f16_e32 v21, v21, v46
	v_fma_f16 v96, v62, s18, v95
	v_mul_f16_e32 v97, 0xb3a8, v73
	v_add_f16_e32 v21, v22, v21
	v_add_f16_e32 v96, v46, v96
	v_fma_f16 v98, v64, s16, v97
	v_add_f16_e32 v21, v25, v21
	v_add_f16_e32 v96, v98, v96
	v_mul_f16_e32 v98, 0x3b7b, v78
	v_add_f16_e32 v21, v26, v21
	v_fma_f16 v99, v66, s4, v98
	v_add_f16_e32 v21, v27, v21
	v_add_f16_e32 v96, v99, v96
	v_mul_f16_e32 v99, 0x3770, v80
	;; [unrolled: 5-line block ×4, first 2 shown]
	v_add_f16_e32 v19, v20, v19
	v_fma_f16 v102, v76, s5, v101
	v_add_f16_e32 v17, v17, v19
	v_fma_f16 v19, v63, s20, v85
	v_add_f16_e32 v96, v102, v96
	v_mul_f16_e32 v102, 0x388b, v71
	v_add_f16_e32 v19, v47, v19
	v_fma_f16 v20, v65, s17, v90
	v_fma_f16 v103, v63, s28, v102
	v_mul_f16_e32 v104, 0xb5ac, v75
	v_add_f16_e32 v19, v20, v19
	v_fma_f16 v20, v67, s29, v91
	v_add_f16_e32 v103, v47, v103
	v_fma_f16 v105, v65, s29, v104
	;; [unrolled: 2-line block ×3, first 2 shown]
	v_add_f16_e32 v103, v105, v103
	v_mul_f16_e32 v105, 0xbbc4, v79
	v_add_f16_e32 v19, v20, v19
	v_fma_f16 v20, v74, s26, v93
	v_fma_f16 v106, v67, s27, v105
	v_add_f16_e32 v19, v20, v19
	v_fma_f16 v20, v77, s15, v94
	v_add_f16_e32 v103, v106, v103
	v_mul_f16_e32 v106, 0xb9fd, v82
	v_add_f16_e32 v19, v20, v19
	v_fma_f16 v20, v62, s18, -v95
	v_fma_f16 v107, v70, s15, v106
	v_add_f16_e32 v20, v46, v20
	v_fma_f16 v21, v64, s16, -v97
	v_add_f16_e32 v103, v107, v103
	v_mul_f16_e32 v107, 0x2fb7, v86
	v_add_f16_e32 v20, v21, v20
	v_fma_f16 v21, v66, s4, -v98
	v_fma_f16 v108, v74, s20, v107
	v_add_f16_e32 v20, v21, v20
	v_fma_f16 v21, v68, s21, -v99
	;; [unrolled: 7-line block ×3, first 2 shown]
	v_add_f16_e32 v103, v109, v103
	v_mul_f16_e32 v109, 0xba95, v69
	v_add_f16_e32 v20, v21, v20
	v_fma_f16 v21, v63, s26, v102
	v_fma_f16 v110, v62, s24, v109
	v_mul_f16_e32 v111, 0xbb7b, v73
	v_add_f16_e32 v21, v47, v21
	v_fma_f16 v22, v65, s14, v104
	v_add_f16_e32 v110, v46, v110
	v_fma_f16 v112, v64, s4, v111
	;; [unrolled: 2-line block ×3, first 2 shown]
	v_add_f16_e32 v110, v112, v110
	v_mul_f16_e32 v112, 0xb3a8, v78
	v_add_f16_e32 v21, v22, v21
	v_fma_f16 v22, v70, s19, v106
	v_fma_f16 v113, v66, s16, v112
	v_add_f16_e32 v21, v22, v21
	v_fma_f16 v22, v74, s22, v107
	v_add_f16_e32 v110, v113, v110
	v_mul_f16_e32 v113, 0x394e, v80
	v_add_f16_e32 v21, v22, v21
	v_fma_f16 v22, v77, s25, v108
	v_fma_f16 v114, v68, s5, v113
	v_add_f16_e32 v21, v22, v21
	v_fma_f16 v22, v62, s24, -v109
	v_add_f16_e32 v110, v114, v110
	v_mul_f16_e32 v114, 0x3bf1, v84
	v_add_f16_e32 v22, v46, v22
	v_fma_f16 v23, v64, s4, -v111
	v_fma_f16 v115, v72, s18, v114
	v_add_f16_e32 v22, v23, v22
	v_fma_f16 v23, v66, s16, -v112
	v_add_f16_e32 v110, v115, v110
	v_mul_f16_e32 v115, 0x3770, v88
	v_add_f16_e32 v22, v23, v22
	v_fma_f16 v23, v68, s5, -v113
	v_fma_f16 v116, v76, s21, v115
	v_mul_f16_e32 v71, 0x3b15, v71
	v_add_f16_e32 v22, v23, v22
	v_fma_f16 v23, v72, s18, -v114
	v_add_f16_e32 v110, v116, v110
	v_fma_f16 v116, v63, s25, v71
	v_mul_f16_e32 v75, 0x388b, v75
	v_add_f16_e32 v22, v23, v22
	v_fma_f16 v23, v76, s21, -v115
	v_add_f16_e32 v116, v47, v116
	v_fma_f16 v117, v65, s28, v75
	v_mul_f16_e32 v79, 0x2fb7, v79
	v_add_f16_e32 v17, v18, v17
	v_add_f16_e32 v18, v48, v47
	;; [unrolled: 1-line block ×3, first 2 shown]
	v_fma_f16 v23, v63, s23, v71
	v_add_f16_e32 v116, v117, v116
	v_fma_f16 v117, v67, s22, v79
	v_mul_f16_e32 v82, 0xb5ac, v82
	v_add_f16_e32 v18, v49, v18
	v_add_f16_e32 v23, v47, v23
	v_fma_f16 v24, v65, s26, v75
	v_add_f16_e32 v116, v117, v116
	v_fma_f16 v117, v70, s29, v82
	v_mul_f16_e32 v86, 0xb9fd, v86
	v_add_f16_e32 v18, v51, v18
	v_add_f16_e32 v23, v24, v23
	;; [unrolled: 6-line block ×6, first 2 shown]
	v_fma_f16 v24, v62, s21, -v69
	v_add_f16_e32 v117, v118, v117
	v_fma_f16 v118, v66, s18, v78
	v_mul_f16_e32 v80, 0xbb7b, v80
	v_add_f16_e32 v18, v50, v18
	v_add_f16_e32 v24, v46, v24
	v_fma_f16 v25, v64, s24, -v73
	v_add_f16_e32 v117, v118, v117
	v_fma_f16 v118, v68, s4, v80
	v_mul_f16_e32 v84, 0xb94e, v84
	v_add_f16_e32 v18, v45, v18
	v_add_f16_e32 v24, v25, v24
	;; [unrolled: 6-line block ×3, first 2 shown]
	v_fma_f16 v25, v68, s4, -v80
	v_add_f16_e32 v117, v118, v117
	v_fma_f16 v118, v76, s16, v88
	v_add_f16_e32 v18, v42, v18
	v_add_f16_e32 v24, v25, v24
	v_fma_f16 v25, v72, s5, -v84
	v_add_f16_e32 v117, v118, v117
	v_add_f16_e32 v18, v41, v18
	;; [unrolled: 1-line block ×3, first 2 shown]
	v_fma_f16 v25, v76, s16, -v88
	v_add_f16_e32 v24, v25, v24
	v_lshl_add_u32 v25, v38, 2, v35
	v_pack_b32_f16 v26, v117, v116
	v_pack_b32_f16 v17, v17, v18
	ds_write2_b32 v25, v17, v26 offset1:1
	v_pack_b32_f16 v17, v96, v87
	v_pack_b32_f16 v18, v110, v103
	s_mov_b32 s4, 0x5040100
	ds_write2_b32 v25, v18, v17 offset0:2 offset1:3
	v_pack_b32_f16 v17, v81, v83
	v_perm_b32 v18, v57, v56, s4
	ds_write2_b32 v25, v17, v18 offset0:4 offset1:5
	v_perm_b32 v17, v61, v32, s4
	v_perm_b32 v18, v59, v31, s4
	ds_write2_b32 v25, v18, v17 offset0:6 offset1:7
	v_perm_b32 v17, v58, v30, s4
	v_perm_b32 v18, v60, v29, s4
	ds_write2_b32 v25, v18, v17 offset0:8 offset1:9
	v_pack_b32_f16 v17, v22, v21
	v_pack_b32_f16 v18, v20, v19
	ds_write2_b32 v25, v18, v17 offset0:10 offset1:11
	v_pack_b32_f16 v17, v24, v23
	ds_write_b32 v25, v17 offset:48
.LBB0_17:
	s_or_b64 exec, exec, s[2:3]
	v_add_u32_e32 v22, 0x200, v37
	s_waitcnt lgkmcnt(0)
	s_barrier
	ds_read2_b32 v[17:18], v37 offset1:117
	ds_read2_b32 v[19:20], v22 offset0:106 offset1:223
	ds_read_b32 v21, v37 offset:1872
	s_and_saveexec_b64 s[2:3], s[0:1]
	s_cbranch_execz .LBB0_19
; %bb.18:
	ds_read_b32 v56, v37 offset:260
	ds_read2_b32 v[31:32], v22 offset0:54 offset1:171
	v_add_u32_e32 v22, 0x600, v37
	ds_read2_b32 v[29:30], v22 offset0:32 offset1:149
	s_waitcnt lgkmcnt(2)
	v_lshrrev_b32_e32 v57, 16, v56
	s_waitcnt lgkmcnt(1)
	v_lshrrev_b32_e32 v59, 16, v31
	v_lshrrev_b32_e32 v61, 16, v32
	s_waitcnt lgkmcnt(0)
	v_lshrrev_b32_e32 v60, 16, v29
	v_lshrrev_b32_e32 v58, 16, v30
.LBB0_19:
	s_or_b64 exec, exec, s[2:3]
	s_waitcnt lgkmcnt(2)
	v_lshrrev_b32_e32 v23, 16, v18
	v_mul_f16_sdwa v27, v4, v23 dst_sel:DWORD dst_unused:UNUSED_PAD src0_sel:WORD_1 src1_sel:DWORD
	s_waitcnt lgkmcnt(1)
	v_lshrrev_b32_e32 v24, 16, v19
	v_fma_f16 v27, v4, v18, v27
	v_mul_f16_sdwa v18, v4, v18 dst_sel:DWORD dst_unused:UNUSED_PAD src0_sel:WORD_1 src1_sel:DWORD
	v_fma_f16 v4, v4, v23, -v18
	v_mul_f16_sdwa v18, v5, v24 dst_sel:DWORD dst_unused:UNUSED_PAD src0_sel:WORD_1 src1_sel:DWORD
	v_lshrrev_b32_e32 v25, 16, v20
	v_fma_f16 v18, v5, v19, v18
	v_mul_f16_sdwa v19, v5, v19 dst_sel:DWORD dst_unused:UNUSED_PAD src0_sel:WORD_1 src1_sel:DWORD
	v_fma_f16 v5, v5, v24, -v19
	v_mul_f16_sdwa v19, v6, v25 dst_sel:DWORD dst_unused:UNUSED_PAD src0_sel:WORD_1 src1_sel:DWORD
	s_waitcnt lgkmcnt(0)
	v_lshrrev_b32_e32 v26, 16, v21
	v_fma_f16 v19, v6, v20, v19
	v_mul_f16_sdwa v20, v6, v20 dst_sel:DWORD dst_unused:UNUSED_PAD src0_sel:WORD_1 src1_sel:DWORD
	v_fma_f16 v6, v6, v25, -v20
	v_mul_f16_sdwa v20, v7, v26 dst_sel:DWORD dst_unused:UNUSED_PAD src0_sel:WORD_1 src1_sel:DWORD
	v_fma_f16 v20, v7, v21, v20
	v_mul_f16_sdwa v21, v7, v21 dst_sel:DWORD dst_unused:UNUSED_PAD src0_sel:WORD_1 src1_sel:DWORD
	v_fma_f16 v7, v7, v26, -v21
	v_add_f16_e32 v23, v18, v19
	v_fma_f16 v23, v23, -0.5, v17
	v_sub_f16_e32 v24, v4, v7
	s_mov_b32 s4, 0xbb9c
	s_movk_i32 s15, 0x3b9c
	v_fma_f16 v25, v24, s4, v23
	v_sub_f16_e32 v26, v5, v6
	s_mov_b32 s5, 0xb8b4
	v_sub_f16_e32 v28, v27, v18
	v_sub_f16_e32 v38, v20, v19
	v_fma_f16 v23, v24, s15, v23
	s_movk_i32 s16, 0x38b4
	v_fma_f16 v25, v26, s5, v25
	v_add_f16_e32 v28, v28, v38
	s_movk_i32 s14, 0x34f2
	v_fma_f16 v23, v26, s16, v23
	v_add_f16_e32 v21, v17, v27
	v_fma_f16 v25, v28, s14, v25
	v_fma_f16 v23, v28, s14, v23
	v_add_f16_e32 v28, v27, v20
	v_lshrrev_b32_e32 v22, 16, v17
	v_add_f16_e32 v21, v21, v18
	v_fma_f16 v17, v28, -0.5, v17
	v_add_f16_e32 v21, v21, v19
	v_fma_f16 v28, v26, s15, v17
	v_fma_f16 v17, v26, s4, v17
	v_add_f16_e32 v26, v5, v6
	v_add_f16_e32 v21, v21, v20
	v_sub_f16_e32 v38, v18, v27
	v_sub_f16_e32 v41, v19, v20
	v_fma_f16 v26, v26, -0.5, v22
	v_sub_f16_e32 v20, v27, v20
	v_fma_f16 v28, v24, s5, v28
	v_add_f16_e32 v38, v38, v41
	v_fma_f16 v17, v24, s16, v17
	v_fma_f16 v27, v20, s15, v26
	v_sub_f16_e32 v18, v18, v19
	v_fma_f16 v28, v38, s14, v28
	v_fma_f16 v17, v38, s14, v17
	;; [unrolled: 1-line block ×3, first 2 shown]
	v_sub_f16_e32 v27, v4, v5
	v_sub_f16_e32 v38, v7, v6
	v_fma_f16 v26, v20, s4, v26
	v_add_f16_e32 v27, v27, v38
	v_fma_f16 v26, v18, s5, v26
	v_add_f16_e32 v24, v22, v4
	v_fma_f16 v19, v27, s14, v19
	v_fma_f16 v26, v27, s14, v26
	v_add_f16_e32 v27, v4, v7
	v_add_f16_e32 v24, v24, v5
	v_fma_f16 v22, v27, -0.5, v22
	v_add_f16_e32 v24, v24, v6
	v_fma_f16 v27, v18, s4, v22
	v_sub_f16_e32 v4, v5, v4
	v_sub_f16_e32 v5, v6, v7
	v_fma_f16 v6, v18, s15, v22
	v_fma_f16 v27, v20, s16, v27
	v_add_f16_e32 v4, v4, v5
	v_fma_f16 v6, v20, s5, v6
	v_fma_f16 v5, v4, s14, v27
	v_fma_f16 v4, v4, s14, v6
	v_add_f16_e32 v24, v24, v7
	v_pack_b32_f16 v5, v28, v5
	v_pack_b32_f16 v4, v17, v4
	s_barrier
	v_pack_b32_f16 v6, v21, v24
	v_pack_b32_f16 v7, v25, v19
	ds_write2_b32 v44, v5, v4 offset0:26 offset1:39
	v_pack_b32_f16 v4, v23, v26
	ds_write2_b32 v44, v6, v7 offset1:13
	ds_write_b32 v44, v4 offset:208
	s_and_saveexec_b64 s[2:3], s[0:1]
	s_cbranch_execz .LBB0_21
; %bb.20:
	v_mul_f16_sdwa v4, v1, v32 dst_sel:DWORD dst_unused:UNUSED_PAD src0_sel:WORD_1 src1_sel:DWORD
	v_mul_f16_sdwa v5, v0, v31 dst_sel:DWORD dst_unused:UNUSED_PAD src0_sel:WORD_1 src1_sel:DWORD
	;; [unrolled: 1-line block ×4, first 2 shown]
	v_fma_f16 v4, v1, v61, -v4
	v_fma_f16 v5, v0, v59, -v5
	;; [unrolled: 1-line block ×4, first 2 shown]
	v_sub_f16_e32 v6, v4, v5
	v_sub_f16_e32 v18, v7, v17
	v_add_f16_e32 v6, v18, v6
	v_mul_f16_sdwa v18, v1, v61 dst_sel:DWORD dst_unused:UNUSED_PAD src0_sel:WORD_1 src1_sel:DWORD
	v_fma_f16 v1, v1, v32, v18
	v_mul_f16_sdwa v18, v2, v60 dst_sel:DWORD dst_unused:UNUSED_PAD src0_sel:WORD_1 src1_sel:DWORD
	v_mul_f16_sdwa v21, v0, v59 dst_sel:DWORD dst_unused:UNUSED_PAD src0_sel:WORD_1 src1_sel:DWORD
	v_fma_f16 v2, v2, v29, v18
	v_add_f16_e32 v19, v17, v5
	v_fma_f16 v0, v0, v31, v21
	v_mul_f16_sdwa v21, v3, v58 dst_sel:DWORD dst_unused:UNUSED_PAD src0_sel:WORD_1 src1_sel:DWORD
	v_sub_f16_e32 v18, v1, v2
	v_fma_f16 v19, v19, -0.5, v57
	v_fma_f16 v3, v3, v30, v21
	v_fma_f16 v20, v18, s15, v19
	v_sub_f16_e32 v21, v0, v3
	v_add_f16_e32 v24, v3, v0
	v_fma_f16 v19, v18, s4, v19
	v_fma_f16 v20, v21, s5, v20
	v_sub_f16_e32 v22, v1, v0
	v_sub_f16_e32 v23, v2, v3
	v_fma_f16 v24, v24, -0.5, v56
	v_sub_f16_e32 v25, v4, v7
	v_fma_f16 v19, v21, s16, v19
	v_fma_f16 v20, v6, s14, v20
	v_add_f16_e32 v22, v23, v22
	v_sub_f16_e32 v23, v5, v17
	v_fma_f16 v26, v25, s4, v24
	v_fma_f16 v6, v6, s14, v19
	;; [unrolled: 1-line block ×7, first 2 shown]
	v_sub_f16_e32 v22, v5, v4
	v_sub_f16_e32 v24, v17, v7
	;; [unrolled: 1-line block ×4, first 2 shown]
	v_add_f16_e32 v22, v24, v22
	v_add_f16_e32 v24, v7, v4
	;; [unrolled: 1-line block ×5, first 2 shown]
	v_fma_f16 v24, v24, -0.5, v57
	v_fma_f16 v29, v29, -0.5, v56
	v_add_f16_e32 v5, v5, v57
	v_add_f16_e32 v0, v1, v0
	v_fma_f16 v27, v21, s15, v24
	v_fma_f16 v30, v23, s4, v29
	v_add_f16_e32 v4, v4, v5
	v_add_f16_e32 v0, v2, v0
	v_fma_f16 v27, v18, s16, v27
	v_fma_f16 v30, v25, s5, v30
	v_add_f16_e32 v4, v7, v4
	v_add_f16_e32 v0, v3, v0
	v_mul_u32_u24_e32 v3, 0x41, v39
	v_fma_f16 v27, v22, s14, v27
	v_fma_f16 v30, v28, s14, v30
	v_add_f16_e32 v4, v17, v4
	v_fma_f16 v1, v21, s4, v24
	v_fma_f16 v2, v23, s15, v29
	v_add_u32_sdwa v3, v3, v40 dst_sel:DWORD dst_unused:UNUSED_PAD src0_sel:DWORD src1_sel:BYTE_0
	v_fma_f16 v1, v18, s5, v1
	v_fma_f16 v2, v25, s16, v2
	v_lshl_add_u32 v3, v3, 2, v35
	v_pack_b32_f16 v0, v0, v4
	v_pack_b32_f16 v4, v30, v27
	v_fma_f16 v1, v22, s14, v1
	v_fma_f16 v2, v28, s14, v2
	ds_write2_b32 v3, v0, v4 offset1:13
	v_pack_b32_f16 v0, v19, v6
	v_pack_b32_f16 v4, v26, v20
	ds_write2_b32 v3, v0, v4 offset0:26 offset1:39
	v_pack_b32_f16 v0, v2, v1
	ds_write_b32 v3, v0 offset:208
.LBB0_21:
	s_or_b64 exec, exec, s[2:3]
	s_waitcnt lgkmcnt(0)
	s_barrier
	ds_read_b32 v17, v37
	ds_read2_b32 v[0:1], v37 offset0:65 offset1:130
	v_add_u32_e32 v2, 0x200, v37
	ds_read2_b32 v[2:3], v2 offset0:67 offset1:132
	v_add_u32_e32 v4, 0x400, v37
	ds_read2_b32 v[4:5], v4 offset0:69 offset1:134
	s_waitcnt lgkmcnt(2)
	v_lshrrev_b32_e32 v19, 16, v0
	v_mul_f16_sdwa v27, v8, v19 dst_sel:DWORD dst_unused:UNUSED_PAD src0_sel:WORD_1 src1_sel:DWORD
	v_lshrrev_b32_e32 v20, 16, v1
	v_fma_f16 v27, v8, v0, v27
	v_mul_f16_sdwa v0, v8, v0 dst_sel:DWORD dst_unused:UNUSED_PAD src0_sel:WORD_1 src1_sel:DWORD
	v_fma_f16 v0, v8, v19, -v0
	v_mul_f16_sdwa v8, v9, v20 dst_sel:DWORD dst_unused:UNUSED_PAD src0_sel:WORD_1 src1_sel:DWORD
	s_waitcnt lgkmcnt(1)
	v_lshrrev_b32_e32 v21, 16, v2
	v_fma_f16 v8, v9, v1, v8
	v_mul_f16_sdwa v1, v9, v1 dst_sel:DWORD dst_unused:UNUSED_PAD src0_sel:WORD_1 src1_sel:DWORD
	v_fma_f16 v1, v9, v20, -v1
	v_mul_f16_sdwa v9, v10, v21 dst_sel:DWORD dst_unused:UNUSED_PAD src0_sel:WORD_1 src1_sel:DWORD
	v_add_u32_e32 v6, 0x600, v37
	v_lshrrev_b32_e32 v22, 16, v3
	v_fma_f16 v9, v10, v2, v9
	v_mul_f16_sdwa v2, v10, v2 dst_sel:DWORD dst_unused:UNUSED_PAD src0_sel:WORD_1 src1_sel:DWORD
	ds_read2_b32 v[6:7], v6 offset0:71 offset1:136
	v_fma_f16 v2, v10, v21, -v2
	v_mul_f16_sdwa v10, v11, v22 dst_sel:DWORD dst_unused:UNUSED_PAD src0_sel:WORD_1 src1_sel:DWORD
	s_waitcnt lgkmcnt(1)
	v_lshrrev_b32_e32 v23, 16, v4
	v_fma_f16 v10, v11, v3, v10
	v_mul_f16_sdwa v3, v11, v3 dst_sel:DWORD dst_unused:UNUSED_PAD src0_sel:WORD_1 src1_sel:DWORD
	v_fma_f16 v3, v11, v22, -v3
	v_mul_f16_sdwa v11, v12, v23 dst_sel:DWORD dst_unused:UNUSED_PAD src0_sel:WORD_1 src1_sel:DWORD
	v_lshrrev_b32_e32 v24, 16, v5
	v_fma_f16 v11, v12, v4, v11
	v_mul_f16_sdwa v4, v12, v4 dst_sel:DWORD dst_unused:UNUSED_PAD src0_sel:WORD_1 src1_sel:DWORD
	v_fma_f16 v4, v12, v23, -v4
	v_mul_f16_sdwa v12, v13, v24 dst_sel:DWORD dst_unused:UNUSED_PAD src0_sel:WORD_1 src1_sel:DWORD
	s_waitcnt lgkmcnt(0)
	v_lshrrev_b32_e32 v25, 16, v6
	v_fma_f16 v12, v13, v5, v12
	v_mul_f16_sdwa v5, v13, v5 dst_sel:DWORD dst_unused:UNUSED_PAD src0_sel:WORD_1 src1_sel:DWORD
	v_fma_f16 v5, v13, v24, -v5
	v_mul_f16_sdwa v13, v14, v25 dst_sel:DWORD dst_unused:UNUSED_PAD src0_sel:WORD_1 src1_sel:DWORD
	v_lshrrev_b32_e32 v26, 16, v7
	v_fma_f16 v13, v14, v6, v13
	v_mul_f16_sdwa v6, v14, v6 dst_sel:DWORD dst_unused:UNUSED_PAD src0_sel:WORD_1 src1_sel:DWORD
	v_fma_f16 v6, v14, v25, -v6
	v_mul_f16_sdwa v14, v15, v26 dst_sel:DWORD dst_unused:UNUSED_PAD src0_sel:WORD_1 src1_sel:DWORD
	v_fma_f16 v14, v15, v7, v14
	v_mul_f16_sdwa v7, v15, v7 dst_sel:DWORD dst_unused:UNUSED_PAD src0_sel:WORD_1 src1_sel:DWORD
	v_fma_f16 v7, v15, v26, -v7
	v_add_f16_e32 v15, v27, v14
	v_add_f16_e32 v19, v0, v7
	v_sub_f16_e32 v0, v0, v7
	s_movk_i32 s3, 0x3a21
	v_add_f16_e32 v20, v8, v13
	v_add_f16_e32 v21, v1, v6
	v_sub_f16_e32 v7, v8, v13
	v_sub_f16_e32 v1, v1, v6
	v_mul_f16_e32 v8, 0x3924, v0
	s_movk_i32 s0, 0x3be1
	v_fma_f16 v13, v15, s3, v17
	s_movk_i32 s4, 0x318f
	v_add_f16_e32 v22, v9, v12
	v_add_f16_e32 v23, v2, v5
	v_sub_f16_e32 v2, v2, v5
	v_fma_f16 v8, v1, s0, v8
	s_movk_i32 s1, 0x3aee
	v_fma_f16 v13, v20, s4, v13
	v_sub_f16_e32 v6, v9, v12
	v_fma_f16 v8, v2, s1, v8
	v_sub_f16_e32 v12, v3, v4
	s_movk_i32 s2, 0x3579
	v_fma_f16 v13, v22, -0.5, v13
	v_add_f16_e32 v25, v10, v11
	s_mov_b32 s5, 0xbb84
	v_fma_f16 v8, v12, s2, v8
	v_fma_f16 v13, v25, s5, v13
	v_lshrrev_b32_e32 v18, 16, v17
	v_sub_f16_e32 v14, v27, v14
	v_sub_f16_e32 v9, v10, v11
	v_add_f16_e32 v26, v3, v4
	v_sub_f16_e32 v13, v13, v8
	v_mul_f16_e32 v5, 0x3924, v14
	v_fma_f16 v27, v8, 2.0, v13
	v_mul_f16_e32 v8, 0xb924, v9
	v_mul_f16_e32 v28, 0xb924, v12
	v_fma_f16 v30, v26, s3, v18
	v_fma_f16 v5, v7, s0, v5
	;; [unrolled: 1-line block ×4, first 2 shown]
	s_mov_b32 s0, 0xbaee
	v_fma_f16 v30, v19, s4, v30
	v_fma_f16 v8, v6, s0, v8
	v_fma_f16 v30, v23, -0.5, v30
	v_fma_f16 v8, v7, s2, v8
	v_fma_f16 v30, v21, s5, v30
	;; [unrolled: 1-line block ×3, first 2 shown]
	v_add_f16_e32 v30, v8, v30
	v_fma_f16 v5, v9, s2, v5
	s_mov_b32 s14, 0xb924
	v_fma_f16 v31, v8, -2.0, v30
	v_add_f16_e32 v8, v9, v14
	v_mul_f16_e32 v9, 0x3be1, v9
	v_fma_f16 v28, v2, s0, v28
	v_add_f16_e32 v32, v12, v0
	v_sub_f16_e32 v8, v8, v7
	v_mul_f16_e32 v12, 0x3be1, v12
	v_fma_f16 v7, v7, s14, -v9
	v_fma_f16 v28, v1, s2, v28
	v_sub_f16_e32 v32, v32, v1
	v_add_f16_e32 v41, v21, v19
	v_fma_f16 v1, v1, s14, -v12
	v_fma_f16 v6, v6, s1, v7
	v_add_f16_e32 v40, v20, v15
	v_fma_f16 v1, v2, s1, v1
	v_fma_f16 v2, v14, s2, v6
	v_add_f16_e32 v6, v23, v41
	v_fma_f16 v24, v19, s3, v18
	v_fma_f16 v29, v25, s3, v17
	;; [unrolled: 1-line block ×3, first 2 shown]
	v_add_f16_e32 v1, v22, v40
	v_add_f16_e32 v3, v3, v6
	v_fma_f16 v24, v21, s4, v24
	v_fma_f16 v29, v15, s4, v29
	v_add_f16_e32 v1, v10, v1
	v_add_f16_e32 v3, v4, v3
	v_fma_f16 v4, v20, s3, v17
	v_fma_f16 v6, v21, s3, v18
	v_fma_f16 v24, v23, -0.5, v24
	v_fma_f16 v29, v22, -0.5, v29
	v_add_f16_e32 v1, v11, v1
	v_fma_f16 v4, v25, s4, v4
	v_fma_f16 v6, v26, s4, v6
	;; [unrolled: 1-line block ×4, first 2 shown]
	v_add_f16_e32 v38, v22, v17
	v_add_f16_e32 v39, v23, v18
	v_add_f16_e32 v42, v25, v40
	v_add_f16_e32 v43, v26, v41
	v_add_f16_e32 v1, v1, v17
	v_add_f16_e32 v3, v3, v18
	v_fma_f16 v4, v22, -0.5, v4
	v_fma_f16 v6, v23, -0.5, v6
	v_add_f16_e32 v24, v5, v24
	v_sub_f16_e32 v29, v29, v28
	v_fma_f16 v38, v42, -0.5, v38
	v_fma_f16 v39, v43, -0.5, v39
	v_fma_f16 v4, v15, s5, v4
	v_fma_f16 v6, v19, s5, v6
	v_pack_b32_f16 v1, v1, v3
	v_mul_f16_e32 v35, 0x3aee, v8
	v_mul_f16_e32 v37, 0x3aee, v32
	v_fma_f16 v32, v32, s0, v38
	v_fma_f16 v8, v8, s1, v39
	v_sub_f16_e32 v4, v4, v0
	v_add_f16_e32 v6, v2, v6
	ds_write_b32 v36, v1
	v_pack_b32_f16 v1, v13, v24
	v_pack_b32_f16 v3, v29, v30
	v_fma_f16 v37, v37, 2.0, v32
	v_fma_f16 v35, v35, -2.0, v8
	v_fma_f16 v0, v0, 2.0, v4
	v_fma_f16 v2, v2, -2.0, v6
	ds_write2_b32 v36, v1, v3 offset0:65 offset1:130
	v_pack_b32_f16 v1, v32, v8
	v_pack_b32_f16 v3, v4, v6
	v_add_u32_e32 v9, 0x200, v36
	v_fma_f16 v5, v5, -2.0, v24
	v_fma_f16 v28, v28, 2.0, v29
	ds_write2_b32 v9, v1, v3 offset0:67 offset1:132
	v_pack_b32_f16 v0, v0, v2
	v_pack_b32_f16 v1, v37, v35
	v_add_u32_e32 v8, 0x400, v36
	ds_write2_b32 v8, v0, v1 offset0:69 offset1:134
	v_pack_b32_f16 v0, v28, v31
	v_pack_b32_f16 v1, v27, v5
	v_add_u32_e32 v7, 0x600, v36
	ds_write2_b32 v7, v0, v1 offset0:71 offset1:136
	s_waitcnt lgkmcnt(0)
	s_barrier
	s_and_b64 exec, exec, vcc
	s_cbranch_execz .LBB0_23
; %bb.22:
	global_load_dword v12, v33, s[6:7]
	global_load_dword v11, v33, s[6:7] offset:180
	ds_read_b32 v19, v36
	v_mad_u64_u32 v[2:3], s[0:1], s10, v16, 0
	v_mad_u64_u32 v[4:5], s[0:1], s8, v34, 0
	v_mov_b32_e32 v6, 0x7c00
	ds_read2_b32 v[0:1], v36 offset0:45 offset1:90
	v_mad_u64_u32 v[20:21], s[0:1], s11, v16, v[3:4]
	s_waitcnt lgkmcnt(1)
	v_lshrrev_b32_e32 v3, 16, v19
	v_mad_u64_u32 v[23:24], s[0:1], s9, v34, v[5:6]
	s_mov_b32 s14, 0x1c01c01c
	s_mov_b32 s15, 0x3f5c01c0
	global_load_dword v13, v33, s[6:7] offset:360
	global_load_dword v14, v33, s[6:7] offset:540
	;; [unrolled: 1-line block ×6, first 2 shown]
	s_movk_i32 s18, 0x1ff
	s_movk_i32 s17, 0xffe
	v_mov_b32_e32 v5, v23
	s_movk_i32 s16, 0x40f
	s_mov_b32 s10, 0x8000
	s_waitcnt vmcnt(7)
	v_mul_f16_sdwa v16, v3, v12 dst_sel:DWORD dst_unused:UNUSED_PAD src0_sel:DWORD src1_sel:WORD_1
	v_fma_f16 v16, v19, v12, v16
	v_mul_f16_sdwa v19, v19, v12 dst_sel:DWORD dst_unused:UNUSED_PAD src0_sel:DWORD src1_sel:WORD_1
	v_cvt_f32_f16_e32 v16, v16
	v_fma_f16 v3, v12, v3, -v19
	v_cvt_f32_f16_e32 v3, v3
	s_waitcnt lgkmcnt(0)
	v_lshrrev_b32_e32 v12, 16, v0
	v_cvt_f64_f32_e32 v[21:22], v16
	v_cvt_f64_f32_e32 v[24:25], v3
	s_waitcnt vmcnt(6)
	v_mul_f16_sdwa v3, v12, v11 dst_sel:DWORD dst_unused:UNUSED_PAD src0_sel:DWORD src1_sel:WORD_1
	v_mul_f64 v[21:22], v[21:22], s[14:15]
	v_fma_f16 v3, v0, v11, v3
	v_mul_f64 v[24:25], v[24:25], s[14:15]
	v_cvt_f32_f16_e32 v16, v3
	v_mov_b32_e32 v3, v20
	v_lshlrev_b64 v[2:3], 2, v[2:3]
	v_mul_f16_sdwa v0, v0, v11 dst_sel:DWORD dst_unused:UNUSED_PAD src0_sel:DWORD src1_sel:WORD_1
	v_cvt_f64_f32_e32 v[19:20], v16
	v_and_or_b32 v16, v22, s18, v21
	v_cmp_ne_u32_e32 vcc, 0, v16
	v_and_or_b32 v24, v25, s18, v24
	v_lshrrev_b32_e32 v21, 8, v22
	v_bfe_u32 v23, v22, 20, 11
	v_cndmask_b32_e64 v16, 0, 1, vcc
	v_cmp_ne_u32_e32 vcc, 0, v24
	v_lshrrev_b32_e32 v26, 8, v25
	v_bfe_u32 v27, v25, 20, 11
	v_sub_u32_e32 v28, 0x3f1, v23
	v_cndmask_b32_e64 v24, 0, 1, vcc
	v_and_or_b32 v16, v21, s17, v16
	v_sub_u32_e32 v29, 0x3f1, v27
	v_med3_i32 v21, v28, 0, 13
	v_and_or_b32 v24, v26, s17, v24
	v_or_b32_e32 v28, 0x1000, v16
	v_add_u32_e32 v23, 0xfffffc10, v23
	v_med3_i32 v26, v29, 0, 13
	v_cmp_ne_u32_e32 vcc, 0, v16
	v_or_b32_e32 v30, 0x1000, v24
	v_lshrrev_b32_e32 v32, v21, v28
	v_add_u32_e32 v27, 0xfffffc10, v27
	v_lshl_or_b32 v29, v23, 12, v16
	v_cndmask_b32_e64 v16, 0, 1, vcc
	v_cmp_ne_u32_e32 vcc, 0, v24
	v_lshrrev_b32_e32 v34, v26, v30
	v_lshlrev_b32_e32 v21, v21, v32
	v_lshl_or_b32 v31, v27, 12, v24
	v_cndmask_b32_e64 v24, 0, 1, vcc
	v_lshlrev_b32_e32 v26, v26, v34
	v_cmp_ne_u32_e32 vcc, v21, v28
	v_cndmask_b32_e64 v21, 0, 1, vcc
	v_cmp_ne_u32_e32 vcc, v26, v30
	v_cndmask_b32_e64 v26, 0, 1, vcc
	v_or_b32_e32 v21, v32, v21
	v_cmp_gt_i32_e32 vcc, 1, v23
	v_cndmask_b32_e32 v21, v29, v21, vcc
	v_or_b32_e32 v26, v34, v26
	v_cmp_gt_i32_e32 vcc, 1, v27
	v_and_b32_e32 v28, 7, v21
	v_cndmask_b32_e32 v26, v31, v26, vcc
	v_cmp_lt_i32_e32 vcc, 5, v28
	v_cmp_eq_u32_e64 s[0:1], 3, v28
	v_lshrrev_b32_e32 v21, 2, v21
	v_and_b32_e32 v29, 7, v26
	s_or_b64 vcc, s[0:1], vcc
	v_cmp_lt_i32_e64 s[2:3], 5, v29
	v_cmp_eq_u32_e64 s[4:5], 3, v29
	v_addc_co_u32_e32 v21, vcc, 0, v21, vcc
	v_lshrrev_b32_e32 v26, 2, v26
	s_or_b64 vcc, s[4:5], s[2:3]
	v_addc_co_u32_e32 v26, vcc, 0, v26, vcc
	v_cmp_gt_i32_e32 vcc, 31, v23
	v_cndmask_b32_e32 v21, v6, v21, vcc
	v_cmp_gt_i32_e32 vcc, 31, v27
	v_lshl_or_b32 v16, v16, 9, v6
	v_cndmask_b32_e32 v26, v6, v26, vcc
	v_cmp_eq_u32_e32 vcc, s16, v23
	v_mul_f64 v[19:20], v[19:20], s[14:15]
	v_lshrrev_b32_e32 v22, 16, v22
	v_lshl_or_b32 v24, v24, 9, v6
	v_cndmask_b32_e32 v16, v21, v16, vcc
	v_cmp_eq_u32_e32 vcc, s16, v27
	v_lshrrev_b32_e32 v25, 16, v25
	v_cndmask_b32_e32 v21, v26, v24, vcc
	v_and_or_b32 v16, v22, s10, v16
	v_and_or_b32 v21, v25, s10, v21
	v_and_b32_e32 v16, 0xffff, v16
	v_lshl_or_b32 v16, v21, 16, v16
	v_mov_b32_e32 v21, s13
	v_add_co_u32_e32 v22, vcc, s12, v2
	v_addc_co_u32_e32 v21, vcc, v21, v3, vcc
	v_lshlrev_b64 v[2:3], 2, v[4:5]
	v_and_or_b32 v4, v20, s18, v19
	v_add_co_u32_e32 v2, vcc, v22, v2
	v_addc_co_u32_e32 v3, vcc, v21, v3, vcc
	v_cmp_ne_u32_e32 vcc, 0, v4
	v_cndmask_b32_e64 v4, 0, 1, vcc
	v_lshrrev_b32_e32 v5, 8, v20
	global_store_dword v[2:3], v16, off
	v_and_or_b32 v16, v5, s17, v4
	v_bfe_u32 v5, v20, 20, 11
	v_sub_u32_e32 v19, 0x3f1, v5
	v_or_b32_e32 v4, 0x1000, v16
	v_med3_i32 v19, v19, 0, 13
	v_lshrrev_b32_e32 v21, v19, v4
	v_lshlrev_b32_e32 v19, v19, v21
	v_cmp_ne_u32_e32 vcc, v19, v4
	v_fma_f16 v0, v11, v12, -v0
	v_cndmask_b32_e64 v4, 0, 1, vcc
	v_add_u32_e32 v19, 0xfffffc10, v5
	v_cvt_f32_f16_e32 v0, v0
	v_or_b32_e32 v4, v21, v4
	v_lshl_or_b32 v5, v19, 12, v16
	v_cmp_gt_i32_e32 vcc, 1, v19
	v_cndmask_b32_e32 v4, v5, v4, vcc
	v_and_b32_e32 v5, 7, v4
	v_cmp_lt_i32_e32 vcc, 5, v5
	v_cmp_eq_u32_e64 s[0:1], 3, v5
	v_lshrrev_b32_e32 v11, 2, v4
	v_cvt_f64_f32_e32 v[4:5], v0
	s_or_b64 vcc, s[0:1], vcc
	v_addc_co_u32_e32 v0, vcc, 0, v11, vcc
	v_mul_f64 v[4:5], v[4:5], s[14:15]
	v_cmp_gt_i32_e32 vcc, 31, v19
	v_cndmask_b32_e32 v0, v6, v0, vcc
	v_cmp_ne_u32_e32 vcc, 0, v16
	v_cndmask_b32_e64 v11, 0, 1, vcc
	v_lshl_or_b32 v11, v11, 9, v6
	v_cmp_eq_u32_e32 vcc, s16, v19
	v_cndmask_b32_e32 v0, v0, v11, vcc
	v_and_or_b32 v4, v5, s18, v4
	v_lshrrev_b32_e32 v11, 16, v20
	v_cmp_ne_u32_e32 vcc, 0, v4
	v_and_or_b32 v0, v11, s10, v0
	v_cndmask_b32_e64 v4, 0, 1, vcc
	v_lshrrev_b32_e32 v11, 8, v5
	v_bfe_u32 v12, v5, 20, 11
	v_and_or_b32 v4, v11, s17, v4
	v_sub_u32_e32 v16, 0x3f1, v12
	v_or_b32_e32 v11, 0x1000, v4
	v_med3_i32 v16, v16, 0, 13
	v_lshrrev_b32_e32 v19, v16, v11
	v_lshlrev_b32_e32 v16, v16, v19
	v_cmp_ne_u32_e32 vcc, v16, v11
	v_cndmask_b32_e64 v11, 0, 1, vcc
	v_add_u32_e32 v12, 0xfffffc10, v12
	v_or_b32_e32 v11, v19, v11
	v_lshl_or_b32 v16, v12, 12, v4
	v_cmp_gt_i32_e32 vcc, 1, v12
	v_cndmask_b32_e32 v11, v16, v11, vcc
	v_and_b32_e32 v16, 7, v11
	v_cmp_lt_i32_e32 vcc, 5, v16
	v_cmp_eq_u32_e64 s[0:1], 3, v16
	v_lshrrev_b32_e32 v11, 2, v11
	s_or_b64 vcc, s[0:1], vcc
	v_addc_co_u32_e32 v11, vcc, 0, v11, vcc
	v_cmp_gt_i32_e32 vcc, 31, v12
	v_cndmask_b32_e32 v11, v6, v11, vcc
	v_cmp_ne_u32_e32 vcc, 0, v4
	v_cndmask_b32_e64 v4, 0, 1, vcc
	v_lshl_or_b32 v4, v4, 9, v6
	v_cmp_eq_u32_e32 vcc, s16, v12
	v_cndmask_b32_e32 v4, v11, v4, vcc
	v_lshrrev_b32_e32 v11, 16, v1
	s_waitcnt vmcnt(6)
	v_mul_f16_sdwa v12, v11, v13 dst_sel:DWORD dst_unused:UNUSED_PAD src0_sel:DWORD src1_sel:WORD_1
	v_fma_f16 v12, v1, v13, v12
	v_cvt_f32_f16_e32 v12, v12
	v_lshrrev_b32_e32 v5, 16, v5
	v_and_or_b32 v4, v5, s10, v4
	v_and_b32_e32 v0, 0xffff, v0
	v_lshl_or_b32 v0, v4, 16, v0
	v_cvt_f64_f32_e32 v[4:5], v12
	s_mul_i32 s0, s9, 0xb4
	s_mul_hi_u32 s2, s8, 0xb4
	s_add_i32 s2, s2, s0
	v_mul_f64 v[4:5], v[4:5], s[14:15]
	s_mul_i32 s3, s8, 0xb4
	v_mov_b32_e32 v12, s2
	v_add_co_u32_e32 v2, vcc, s3, v2
	v_addc_co_u32_e32 v3, vcc, v3, v12, vcc
	global_store_dword v[2:3], v0, off
	v_and_or_b32 v0, v5, s18, v4
	v_cmp_ne_u32_e32 vcc, 0, v0
	v_cndmask_b32_e64 v0, 0, 1, vcc
	v_lshrrev_b32_e32 v4, 8, v5
	v_bfe_u32 v12, v5, 20, 11
	v_and_or_b32 v4, v4, s17, v0
	v_sub_u32_e32 v16, 0x3f1, v12
	v_or_b32_e32 v0, 0x1000, v4
	v_med3_i32 v16, v16, 0, 13
	v_lshrrev_b32_e32 v19, v16, v0
	v_mul_f16_sdwa v1, v1, v13 dst_sel:DWORD dst_unused:UNUSED_PAD src0_sel:DWORD src1_sel:WORD_1
	v_lshlrev_b32_e32 v16, v16, v19
	v_fma_f16 v1, v13, v11, -v1
	v_cmp_ne_u32_e32 vcc, v16, v0
	v_cvt_f32_f16_e32 v1, v1
	v_cndmask_b32_e64 v0, 0, 1, vcc
	v_add_u32_e32 v12, 0xfffffc10, v12
	v_or_b32_e32 v0, v19, v0
	v_lshl_or_b32 v16, v12, 12, v4
	v_cmp_gt_i32_e32 vcc, 1, v12
	v_cndmask_b32_e32 v0, v16, v0, vcc
	v_and_b32_e32 v16, 7, v0
	v_lshrrev_b32_e32 v11, 2, v0
	v_cvt_f64_f32_e32 v[0:1], v1
	v_cmp_lt_i32_e32 vcc, 5, v16
	v_cmp_eq_u32_e64 s[0:1], 3, v16
	s_or_b64 vcc, s[0:1], vcc
	v_mul_f64 v[0:1], v[0:1], s[14:15]
	v_addc_co_u32_e32 v11, vcc, 0, v11, vcc
	v_cmp_gt_i32_e32 vcc, 31, v12
	v_cndmask_b32_e32 v11, v6, v11, vcc
	v_cmp_ne_u32_e32 vcc, 0, v4
	v_cndmask_b32_e64 v4, 0, 1, vcc
	v_lshl_or_b32 v4, v4, 9, v6
	v_cmp_eq_u32_e32 vcc, s16, v12
	v_and_or_b32 v0, v1, s18, v0
	v_cndmask_b32_e32 v4, v11, v4, vcc
	v_lshrrev_b32_e32 v5, 16, v5
	v_cmp_ne_u32_e32 vcc, 0, v0
	v_and_or_b32 v13, v5, s10, v4
	v_cndmask_b32_e64 v0, 0, 1, vcc
	v_lshrrev_b32_e32 v4, 8, v1
	v_bfe_u32 v5, v1, 20, 11
	v_and_or_b32 v0, v4, s17, v0
	v_sub_u32_e32 v11, 0x3f1, v5
	v_or_b32_e32 v4, 0x1000, v0
	v_med3_i32 v11, v11, 0, 13
	v_lshrrev_b32_e32 v12, v11, v4
	v_lshlrev_b32_e32 v11, v11, v12
	v_cmp_ne_u32_e32 vcc, v11, v4
	v_cndmask_b32_e64 v4, 0, 1, vcc
	v_add_u32_e32 v11, 0xfffffc10, v5
	v_or_b32_e32 v4, v12, v4
	v_lshl_or_b32 v5, v11, 12, v0
	v_cmp_gt_i32_e32 vcc, 1, v11
	v_cndmask_b32_e32 v4, v5, v4, vcc
	v_and_b32_e32 v5, 7, v4
	v_cmp_lt_i32_e32 vcc, 5, v5
	v_cmp_eq_u32_e64 s[0:1], 3, v5
	v_lshrrev_b32_e32 v4, 2, v4
	s_or_b64 vcc, s[0:1], vcc
	v_addc_co_u32_e32 v12, vcc, 0, v4, vcc
	ds_read2_b32 v[4:5], v36 offset0:135 offset1:180
	v_cmp_gt_i32_e32 vcc, 31, v11
	v_cndmask_b32_e32 v12, v6, v12, vcc
	v_cmp_ne_u32_e32 vcc, 0, v0
	v_cndmask_b32_e64 v0, 0, 1, vcc
	s_waitcnt lgkmcnt(0)
	v_lshrrev_b32_e32 v16, 16, v4
	s_waitcnt vmcnt(6)
	v_mul_f16_sdwa v19, v16, v14 dst_sel:DWORD dst_unused:UNUSED_PAD src0_sel:DWORD src1_sel:WORD_1
	v_fma_f16 v19, v4, v14, v19
	v_cvt_f32_f16_e32 v19, v19
	v_lshl_or_b32 v0, v0, 9, v6
	v_cmp_eq_u32_e32 vcc, s16, v11
	v_cndmask_b32_e32 v0, v12, v0, vcc
	v_cvt_f64_f32_e32 v[11:12], v19
	v_lshrrev_b32_e32 v1, 16, v1
	v_and_or_b32 v19, v1, s10, v0
	v_add_co_u32_e32 v2, vcc, s3, v2
	v_mul_f64 v[0:1], v[11:12], s[14:15]
	v_mov_b32_e32 v12, s2
	v_and_b32_e32 v13, 0xffff, v13
	v_addc_co_u32_e32 v3, vcc, v3, v12, vcc
	v_lshl_or_b32 v11, v19, 16, v13
	global_store_dword v[2:3], v11, off
	v_mul_f16_sdwa v4, v4, v14 dst_sel:DWORD dst_unused:UNUSED_PAD src0_sel:DWORD src1_sel:WORD_1
	v_and_or_b32 v0, v1, s18, v0
	v_cmp_ne_u32_e32 vcc, 0, v0
	v_cndmask_b32_e64 v0, 0, 1, vcc
	v_lshrrev_b32_e32 v11, 8, v1
	v_bfe_u32 v12, v1, 20, 11
	v_and_or_b32 v0, v11, s17, v0
	v_sub_u32_e32 v13, 0x3f1, v12
	v_or_b32_e32 v11, 0x1000, v0
	v_med3_i32 v13, v13, 0, 13
	v_lshrrev_b32_e32 v19, v13, v11
	v_lshlrev_b32_e32 v13, v13, v19
	v_cmp_ne_u32_e32 vcc, v13, v11
	v_fma_f16 v4, v14, v16, -v4
	v_cndmask_b32_e64 v11, 0, 1, vcc
	v_add_u32_e32 v13, 0xfffffc10, v12
	v_cvt_f32_f16_e32 v4, v4
	v_or_b32_e32 v11, v19, v11
	v_lshl_or_b32 v12, v13, 12, v0
	v_cmp_gt_i32_e32 vcc, 1, v13
	v_cndmask_b32_e32 v11, v12, v11, vcc
	v_and_b32_e32 v12, 7, v11
	v_cmp_lt_i32_e32 vcc, 5, v12
	v_cmp_eq_u32_e64 s[0:1], 3, v12
	v_lshrrev_b32_e32 v14, 2, v11
	v_cvt_f64_f32_e32 v[11:12], v4
	s_or_b64 vcc, s[0:1], vcc
	v_addc_co_u32_e32 v4, vcc, 0, v14, vcc
	v_mul_f64 v[11:12], v[11:12], s[14:15]
	v_cmp_gt_i32_e32 vcc, 31, v13
	v_cndmask_b32_e32 v4, v6, v4, vcc
	v_cmp_ne_u32_e32 vcc, 0, v0
	v_cndmask_b32_e64 v0, 0, 1, vcc
	v_lshl_or_b32 v0, v0, 9, v6
	v_cmp_eq_u32_e32 vcc, s16, v13
	v_cndmask_b32_e32 v0, v4, v0, vcc
	v_lshrrev_b32_e32 v1, 16, v1
	v_and_or_b32 v4, v1, s10, v0
	v_and_or_b32 v0, v12, s18, v11
	v_cmp_ne_u32_e32 vcc, 0, v0
	v_cndmask_b32_e64 v0, 0, 1, vcc
	v_lshrrev_b32_e32 v1, 8, v12
	v_bfe_u32 v11, v12, 20, 11
	v_and_or_b32 v0, v1, s17, v0
	v_sub_u32_e32 v13, 0x3f1, v11
	v_or_b32_e32 v1, 0x1000, v0
	v_med3_i32 v13, v13, 0, 13
	v_lshrrev_b32_e32 v14, v13, v1
	v_lshlrev_b32_e32 v13, v13, v14
	v_cmp_ne_u32_e32 vcc, v13, v1
	v_cndmask_b32_e64 v1, 0, 1, vcc
	v_add_u32_e32 v11, 0xfffffc10, v11
	v_or_b32_e32 v1, v14, v1
	v_lshl_or_b32 v13, v11, 12, v0
	v_cmp_gt_i32_e32 vcc, 1, v11
	v_cndmask_b32_e32 v1, v13, v1, vcc
	v_and_b32_e32 v13, 7, v1
	v_cmp_lt_i32_e32 vcc, 5, v13
	v_cmp_eq_u32_e64 s[0:1], 3, v13
	v_lshrrev_b32_e32 v13, 16, v5
	v_lshrrev_b32_e32 v1, 2, v1
	s_or_b64 vcc, s[0:1], vcc
	s_waitcnt vmcnt(6)
	v_mul_f16_sdwa v14, v13, v15 dst_sel:DWORD dst_unused:UNUSED_PAD src0_sel:DWORD src1_sel:WORD_1
	v_addc_co_u32_e32 v1, vcc, 0, v1, vcc
	v_fma_f16 v14, v5, v15, v14
	v_cmp_gt_i32_e32 vcc, 31, v11
	v_cvt_f32_f16_e32 v14, v14
	v_cndmask_b32_e32 v1, v6, v1, vcc
	v_cmp_ne_u32_e32 vcc, 0, v0
	v_cndmask_b32_e64 v0, 0, 1, vcc
	v_lshl_or_b32 v0, v0, 9, v6
	v_cmp_eq_u32_e32 vcc, s16, v11
	v_cndmask_b32_e32 v11, v1, v0, vcc
	v_cvt_f64_f32_e32 v[0:1], v14
	v_lshrrev_b32_e32 v12, 16, v12
	v_and_or_b32 v11, v12, s10, v11
	v_and_b32_e32 v4, 0xffff, v4
	v_mul_f64 v[0:1], v[0:1], s[14:15]
	v_lshl_or_b32 v4, v11, 16, v4
	v_mov_b32_e32 v11, s2
	v_add_co_u32_e32 v2, vcc, s3, v2
	v_addc_co_u32_e32 v3, vcc, v3, v11, vcc
	global_store_dword v[2:3], v4, off
	v_and_or_b32 v0, v1, s18, v0
	v_cmp_ne_u32_e32 vcc, 0, v0
	v_cndmask_b32_e64 v0, 0, 1, vcc
	v_lshrrev_b32_e32 v4, 8, v1
	v_bfe_u32 v11, v1, 20, 11
	v_and_or_b32 v0, v4, s17, v0
	v_sub_u32_e32 v12, 0x3f1, v11
	v_or_b32_e32 v4, 0x1000, v0
	v_med3_i32 v12, v12, 0, 13
	v_lshrrev_b32_e32 v14, v12, v4
	v_lshlrev_b32_e32 v12, v12, v14
	v_mul_f16_sdwa v5, v5, v15 dst_sel:DWORD dst_unused:UNUSED_PAD src0_sel:DWORD src1_sel:WORD_1
	v_cmp_ne_u32_e32 vcc, v12, v4
	v_fma_f16 v5, v15, v13, -v5
	v_cndmask_b32_e64 v4, 0, 1, vcc
	v_add_u32_e32 v11, 0xfffffc10, v11
	v_cvt_f32_f16_e32 v5, v5
	v_or_b32_e32 v4, v14, v4
	v_lshl_or_b32 v12, v11, 12, v0
	v_cmp_gt_i32_e32 vcc, 1, v11
	v_cndmask_b32_e32 v4, v12, v4, vcc
	v_and_b32_e32 v12, 7, v4
	v_cmp_lt_i32_e32 vcc, 5, v12
	v_cmp_eq_u32_e64 s[0:1], 3, v12
	v_lshrrev_b32_e32 v12, 2, v4
	v_cvt_f64_f32_e32 v[4:5], v5
	s_or_b64 vcc, s[0:1], vcc
	v_addc_co_u32_e32 v12, vcc, 0, v12, vcc
	v_mul_f64 v[4:5], v[4:5], s[14:15]
	v_cmp_gt_i32_e32 vcc, 31, v11
	v_cndmask_b32_e32 v12, v6, v12, vcc
	v_cmp_ne_u32_e32 vcc, 0, v0
	v_cndmask_b32_e64 v0, 0, 1, vcc
	v_lshl_or_b32 v0, v0, 9, v6
	v_cmp_eq_u32_e32 vcc, s16, v11
	v_cndmask_b32_e32 v0, v12, v0, vcc
	v_lshrrev_b32_e32 v1, 16, v1
	v_and_or_b32 v13, v1, s10, v0
	v_and_or_b32 v0, v5, s18, v4
	v_cmp_ne_u32_e32 vcc, 0, v0
	v_cndmask_b32_e64 v0, 0, 1, vcc
	v_lshrrev_b32_e32 v1, 8, v5
	v_and_or_b32 v4, v1, s17, v0
	v_bfe_u32 v1, v5, 20, 11
	v_sub_u32_e32 v11, 0x3f1, v1
	v_or_b32_e32 v0, 0x1000, v4
	v_med3_i32 v11, v11, 0, 13
	v_lshrrev_b32_e32 v12, v11, v0
	v_lshlrev_b32_e32 v11, v11, v12
	v_cmp_ne_u32_e32 vcc, v11, v0
	v_cndmask_b32_e64 v0, 0, 1, vcc
	v_add_u32_e32 v11, 0xfffffc10, v1
	v_or_b32_e32 v0, v12, v0
	v_lshl_or_b32 v1, v11, 12, v4
	v_cmp_gt_i32_e32 vcc, 1, v11
	v_cndmask_b32_e32 v0, v1, v0, vcc
	v_and_b32_e32 v1, 7, v0
	v_cmp_lt_i32_e32 vcc, 5, v1
	v_cmp_eq_u32_e64 s[0:1], 3, v1
	v_lshrrev_b32_e32 v0, 2, v0
	s_or_b64 vcc, s[0:1], vcc
	v_addc_co_u32_e32 v12, vcc, 0, v0, vcc
	ds_read2_b32 v[0:1], v9 offset0:97 offset1:142
	v_cmp_gt_i32_e32 vcc, 31, v11
	v_cndmask_b32_e32 v9, v6, v12, vcc
	v_cmp_ne_u32_e32 vcc, 0, v4
	v_cndmask_b32_e64 v4, 0, 1, vcc
	s_waitcnt lgkmcnt(0)
	v_lshrrev_b32_e32 v14, 16, v0
	s_waitcnt vmcnt(6)
	v_mul_f16_sdwa v12, v14, v17 dst_sel:DWORD dst_unused:UNUSED_PAD src0_sel:DWORD src1_sel:WORD_1
	v_fma_f16 v12, v0, v17, v12
	v_cvt_f32_f16_e32 v12, v12
	v_cmp_eq_u32_e32 vcc, s16, v11
	v_lshl_or_b32 v4, v4, 9, v6
	v_cndmask_b32_e32 v4, v9, v4, vcc
	v_cvt_f64_f32_e32 v[11:12], v12
	v_lshrrev_b32_e32 v5, 16, v5
	v_and_or_b32 v9, v5, s10, v4
	v_add_co_u32_e32 v2, vcc, s3, v2
	v_mul_f64 v[4:5], v[11:12], s[14:15]
	v_mov_b32_e32 v11, s2
	v_and_b32_e32 v13, 0xffff, v13
	v_addc_co_u32_e32 v3, vcc, v3, v11, vcc
	v_lshl_or_b32 v9, v9, 16, v13
	global_store_dword v[2:3], v9, off
	v_mul_f16_sdwa v0, v0, v17 dst_sel:DWORD dst_unused:UNUSED_PAD src0_sel:DWORD src1_sel:WORD_1
	v_and_or_b32 v4, v5, s18, v4
	v_cmp_ne_u32_e32 vcc, 0, v4
	v_cndmask_b32_e64 v4, 0, 1, vcc
	v_lshrrev_b32_e32 v9, 8, v5
	v_bfe_u32 v11, v5, 20, 11
	v_and_or_b32 v4, v9, s17, v4
	v_sub_u32_e32 v12, 0x3f1, v11
	v_or_b32_e32 v9, 0x1000, v4
	v_med3_i32 v12, v12, 0, 13
	v_lshrrev_b32_e32 v13, v12, v9
	v_lshlrev_b32_e32 v12, v12, v13
	v_cmp_ne_u32_e32 vcc, v12, v9
	v_cndmask_b32_e64 v9, 0, 1, vcc
	v_fma_f16 v0, v17, v14, -v0
	v_or_b32_e32 v9, v13, v9
	v_add_u32_e32 v13, 0xfffffc10, v11
	v_cvt_f32_f16_e32 v0, v0
	v_lshl_or_b32 v11, v13, 12, v4
	v_cmp_gt_i32_e32 vcc, 1, v13
	v_cndmask_b32_e32 v9, v11, v9, vcc
	v_and_b32_e32 v11, 7, v9
	v_cmp_lt_i32_e32 vcc, 5, v11
	v_cmp_eq_u32_e64 s[0:1], 3, v11
	v_cvt_f64_f32_e32 v[11:12], v0
	v_lshrrev_b32_e32 v9, 2, v9
	s_or_b64 vcc, s[0:1], vcc
	v_addc_co_u32_e32 v0, vcc, 0, v9, vcc
	v_mul_f64 v[11:12], v[11:12], s[14:15]
	v_cmp_gt_i32_e32 vcc, 31, v13
	v_cndmask_b32_e32 v0, v6, v0, vcc
	v_cmp_ne_u32_e32 vcc, 0, v4
	v_cndmask_b32_e64 v4, 0, 1, vcc
	v_lshl_or_b32 v4, v4, 9, v6
	v_cmp_eq_u32_e32 vcc, s16, v13
	v_cndmask_b32_e32 v0, v0, v4, vcc
	v_lshrrev_b32_e32 v4, 16, v5
	v_and_or_b32 v0, v4, s10, v0
	v_and_or_b32 v4, v12, s18, v11
	v_cmp_ne_u32_e32 vcc, 0, v4
	v_cndmask_b32_e64 v4, 0, 1, vcc
	v_lshrrev_b32_e32 v5, 8, v12
	v_bfe_u32 v9, v12, 20, 11
	v_and_or_b32 v4, v5, s17, v4
	v_sub_u32_e32 v11, 0x3f1, v9
	v_or_b32_e32 v5, 0x1000, v4
	v_med3_i32 v11, v11, 0, 13
	v_lshrrev_b32_e32 v13, v11, v5
	v_lshlrev_b32_e32 v11, v11, v13
	v_cmp_ne_u32_e32 vcc, v11, v5
	v_cndmask_b32_e64 v5, 0, 1, vcc
	v_add_u32_e32 v9, 0xfffffc10, v9
	v_or_b32_e32 v5, v13, v5
	v_lshl_or_b32 v11, v9, 12, v4
	v_cmp_gt_i32_e32 vcc, 1, v9
	v_cndmask_b32_e32 v5, v11, v5, vcc
	v_and_b32_e32 v11, 7, v5
	v_cmp_lt_i32_e32 vcc, 5, v11
	v_cmp_eq_u32_e64 s[0:1], 3, v11
	v_lshrrev_b32_e32 v11, 16, v1
	v_lshrrev_b32_e32 v5, 2, v5
	s_or_b64 vcc, s[0:1], vcc
	s_waitcnt vmcnt(6)
	v_mul_f16_sdwa v13, v11, v18 dst_sel:DWORD dst_unused:UNUSED_PAD src0_sel:DWORD src1_sel:WORD_1
	v_addc_co_u32_e32 v5, vcc, 0, v5, vcc
	v_fma_f16 v13, v1, v18, v13
	v_cmp_gt_i32_e32 vcc, 31, v9
	v_cvt_f32_f16_e32 v13, v13
	v_cndmask_b32_e32 v5, v6, v5, vcc
	v_cmp_ne_u32_e32 vcc, 0, v4
	v_cndmask_b32_e64 v4, 0, 1, vcc
	v_lshl_or_b32 v4, v4, 9, v6
	v_cmp_eq_u32_e32 vcc, s16, v9
	v_cndmask_b32_e32 v9, v5, v4, vcc
	v_cvt_f64_f32_e32 v[4:5], v13
	v_lshrrev_b32_e32 v12, 16, v12
	v_and_or_b32 v9, v12, s10, v9
	v_and_b32_e32 v0, 0xffff, v0
	v_mul_f64 v[4:5], v[4:5], s[14:15]
	v_lshl_or_b32 v0, v9, 16, v0
	v_mov_b32_e32 v9, s2
	v_add_co_u32_e32 v2, vcc, s3, v2
	v_addc_co_u32_e32 v3, vcc, v3, v9, vcc
	global_store_dword v[2:3], v0, off
	v_and_or_b32 v0, v5, s18, v4
	v_cmp_ne_u32_e32 vcc, 0, v0
	v_cndmask_b32_e64 v0, 0, 1, vcc
	v_lshrrev_b32_e32 v4, 8, v5
	v_bfe_u32 v9, v5, 20, 11
	v_and_or_b32 v4, v4, s17, v0
	v_sub_u32_e32 v12, 0x3f1, v9
	v_or_b32_e32 v0, 0x1000, v4
	v_med3_i32 v12, v12, 0, 13
	v_lshrrev_b32_e32 v13, v12, v0
	v_mul_f16_sdwa v1, v1, v18 dst_sel:DWORD dst_unused:UNUSED_PAD src0_sel:DWORD src1_sel:WORD_1
	v_lshlrev_b32_e32 v12, v12, v13
	v_fma_f16 v1, v18, v11, -v1
	v_cmp_ne_u32_e32 vcc, v12, v0
	v_cvt_f32_f16_e32 v1, v1
	v_cndmask_b32_e64 v0, 0, 1, vcc
	v_add_u32_e32 v9, 0xfffffc10, v9
	v_or_b32_e32 v0, v13, v0
	v_lshl_or_b32 v12, v9, 12, v4
	v_cmp_gt_i32_e32 vcc, 1, v9
	v_cndmask_b32_e32 v0, v12, v0, vcc
	v_and_b32_e32 v12, 7, v0
	v_lshrrev_b32_e32 v11, 2, v0
	v_cvt_f64_f32_e32 v[0:1], v1
	v_cmp_lt_i32_e32 vcc, 5, v12
	v_cmp_eq_u32_e64 s[0:1], 3, v12
	s_or_b64 vcc, s[0:1], vcc
	v_mul_f64 v[0:1], v[0:1], s[14:15]
	v_addc_co_u32_e32 v11, vcc, 0, v11, vcc
	v_cmp_gt_i32_e32 vcc, 31, v9
	v_cndmask_b32_e32 v11, v6, v11, vcc
	v_cmp_ne_u32_e32 vcc, 0, v4
	v_cndmask_b32_e64 v4, 0, 1, vcc
	v_lshl_or_b32 v4, v4, 9, v6
	v_cmp_eq_u32_e32 vcc, s16, v9
	v_and_or_b32 v0, v1, s18, v0
	v_cndmask_b32_e32 v4, v11, v4, vcc
	v_lshrrev_b32_e32 v5, 16, v5
	v_cmp_ne_u32_e32 vcc, 0, v0
	v_and_or_b32 v9, v5, s10, v4
	v_cndmask_b32_e64 v0, 0, 1, vcc
	v_lshrrev_b32_e32 v4, 8, v1
	v_bfe_u32 v5, v1, 20, 11
	v_and_or_b32 v0, v4, s17, v0
	v_sub_u32_e32 v11, 0x3f1, v5
	v_or_b32_e32 v4, 0x1000, v0
	v_med3_i32 v11, v11, 0, 13
	v_lshrrev_b32_e32 v12, v11, v4
	v_lshlrev_b32_e32 v11, v11, v12
	v_cmp_ne_u32_e32 vcc, v11, v4
	v_cndmask_b32_e64 v4, 0, 1, vcc
	v_add_u32_e32 v11, 0xfffffc10, v5
	v_or_b32_e32 v4, v12, v4
	v_lshl_or_b32 v5, v11, 12, v0
	v_cmp_gt_i32_e32 vcc, 1, v11
	v_cndmask_b32_e32 v4, v5, v4, vcc
	v_and_b32_e32 v5, 7, v4
	v_cmp_lt_i32_e32 vcc, 5, v5
	v_cmp_eq_u32_e64 s[0:1], 3, v5
	v_lshrrev_b32_e32 v4, 2, v4
	s_or_b64 vcc, s[0:1], vcc
	v_addc_co_u32_e32 v12, vcc, 0, v4, vcc
	ds_read2_b32 v[4:5], v8 offset0:59 offset1:104
	v_cmp_gt_i32_e32 vcc, 31, v11
	v_cndmask_b32_e32 v12, v6, v12, vcc
	v_cmp_ne_u32_e32 vcc, 0, v0
	v_cndmask_b32_e64 v0, 0, 1, vcc
	s_waitcnt lgkmcnt(0)
	v_lshrrev_b32_e32 v13, 16, v4
	s_waitcnt vmcnt(6)
	v_mul_f16_sdwa v14, v13, v10 dst_sel:DWORD dst_unused:UNUSED_PAD src0_sel:DWORD src1_sel:WORD_1
	v_fma_f16 v14, v4, v10, v14
	v_cvt_f32_f16_e32 v14, v14
	v_lshl_or_b32 v0, v0, 9, v6
	v_cmp_eq_u32_e32 vcc, s16, v11
	v_cndmask_b32_e32 v0, v12, v0, vcc
	v_cvt_f64_f32_e32 v[11:12], v14
	v_lshrrev_b32_e32 v1, 16, v1
	v_and_or_b32 v14, v1, s10, v0
	v_add_co_u32_e32 v2, vcc, s3, v2
	v_mul_f64 v[0:1], v[11:12], s[14:15]
	global_load_dword v11, v33, s[6:7] offset:1440
	v_mov_b32_e32 v12, s2
	v_and_b32_e32 v9, 0xffff, v9
	v_addc_co_u32_e32 v3, vcc, v3, v12, vcc
	v_lshl_or_b32 v9, v14, 16, v9
	global_store_dword v[2:3], v9, off
	v_and_or_b32 v0, v1, s18, v0
	v_cmp_ne_u32_e32 vcc, 0, v0
	v_cndmask_b32_e64 v0, 0, 1, vcc
	v_lshrrev_b32_e32 v9, 8, v1
	v_bfe_u32 v12, v1, 20, 11
	v_and_or_b32 v0, v9, s17, v0
	v_sub_u32_e32 v14, 0x3f1, v12
	v_or_b32_e32 v9, 0x1000, v0
	v_med3_i32 v14, v14, 0, 13
	v_lshrrev_b32_e32 v15, v14, v9
	v_mul_f16_sdwa v4, v4, v10 dst_sel:DWORD dst_unused:UNUSED_PAD src0_sel:DWORD src1_sel:WORD_1
	v_lshlrev_b32_e32 v14, v14, v15
	v_fma_f16 v4, v10, v13, -v4
	v_cmp_ne_u32_e32 vcc, v14, v9
	v_cvt_f32_f16_e32 v4, v4
	v_cndmask_b32_e64 v9, 0, 1, vcc
	v_add_u32_e32 v12, 0xfffffc10, v12
	v_or_b32_e32 v9, v15, v9
	v_lshl_or_b32 v14, v12, 12, v0
	v_cmp_gt_i32_e32 vcc, 1, v12
	v_cndmask_b32_e32 v9, v14, v9, vcc
	v_and_b32_e32 v14, 7, v9
	v_lshrrev_b32_e32 v13, 2, v9
	v_cvt_f64_f32_e32 v[9:10], v4
	v_cmp_lt_i32_e32 vcc, 5, v14
	v_cmp_eq_u32_e64 s[0:1], 3, v14
	s_or_b64 vcc, s[0:1], vcc
	v_mul_f64 v[9:10], v[9:10], s[14:15]
	v_addc_co_u32_e32 v4, vcc, 0, v13, vcc
	v_cmp_gt_i32_e32 vcc, 31, v12
	v_cndmask_b32_e32 v4, v6, v4, vcc
	v_cmp_ne_u32_e32 vcc, 0, v0
	v_cndmask_b32_e64 v0, 0, 1, vcc
	v_lshl_or_b32 v0, v0, 9, v6
	v_cmp_eq_u32_e32 vcc, s16, v12
	v_cndmask_b32_e32 v0, v4, v0, vcc
	v_lshrrev_b32_e32 v1, 16, v1
	v_and_or_b32 v4, v1, s10, v0
	v_and_or_b32 v0, v10, s18, v9
	v_cmp_ne_u32_e32 vcc, 0, v0
	v_cndmask_b32_e64 v0, 0, 1, vcc
	v_lshrrev_b32_e32 v1, 8, v10
	v_bfe_u32 v9, v10, 20, 11
	v_and_or_b32 v0, v1, s17, v0
	v_sub_u32_e32 v12, 0x3f1, v9
	v_or_b32_e32 v1, 0x1000, v0
	v_med3_i32 v12, v12, 0, 13
	v_lshrrev_b32_e32 v13, v12, v1
	v_lshlrev_b32_e32 v12, v12, v13
	v_cmp_ne_u32_e32 vcc, v12, v1
	v_cndmask_b32_e64 v1, 0, 1, vcc
	v_or_b32_e32 v1, v13, v1
	global_load_dword v13, v33, s[6:7] offset:1620
	global_load_dword v14, v33, s[6:7] offset:1800
	;; [unrolled: 1-line block ×3, first 2 shown]
	v_add_u32_e32 v9, 0xfffffc10, v9
	v_lshl_or_b32 v12, v9, 12, v0
	v_cmp_gt_i32_e32 vcc, 1, v9
	v_cndmask_b32_e32 v1, v12, v1, vcc
	v_and_b32_e32 v12, 7, v1
	v_cmp_lt_i32_e32 vcc, 5, v12
	v_cmp_eq_u32_e64 s[0:1], 3, v12
	v_lshrrev_b32_e32 v12, 16, v5
	v_lshrrev_b32_e32 v1, 2, v1
	s_or_b64 vcc, s[0:1], vcc
	v_addc_co_u32_e32 v1, vcc, 0, v1, vcc
	v_cmp_gt_i32_e32 vcc, 31, v9
	v_cndmask_b32_e32 v1, v6, v1, vcc
	v_cmp_ne_u32_e32 vcc, 0, v0
	v_cndmask_b32_e64 v0, 0, 1, vcc
	v_lshl_or_b32 v0, v0, 9, v6
	v_cmp_eq_u32_e32 vcc, s16, v9
	v_cndmask_b32_e32 v9, v1, v0, vcc
	s_waitcnt vmcnt(4)
	v_mul_f16_sdwa v16, v12, v11 dst_sel:DWORD dst_unused:UNUSED_PAD src0_sel:DWORD src1_sel:WORD_1
	v_fma_f16 v16, v5, v11, v16
	v_cvt_f32_f16_e32 v16, v16
	v_lshrrev_b32_e32 v10, 16, v10
	v_and_or_b32 v9, v10, s10, v9
	v_and_b32_e32 v4, 0xffff, v4
	v_cvt_f64_f32_e32 v[0:1], v16
	v_lshl_or_b32 v4, v9, 16, v4
	v_mov_b32_e32 v9, s2
	v_add_co_u32_e32 v2, vcc, s3, v2
	v_mul_f64 v[0:1], v[0:1], s[14:15]
	v_addc_co_u32_e32 v3, vcc, v3, v9, vcc
	global_store_dword v[2:3], v4, off
	v_mul_f16_sdwa v5, v5, v11 dst_sel:DWORD dst_unused:UNUSED_PAD src0_sel:DWORD src1_sel:WORD_1
	v_fma_f16 v5, v11, v12, -v5
	v_cvt_f32_f16_e32 v5, v5
	v_and_or_b32 v0, v1, s18, v0
	v_cmp_ne_u32_e32 vcc, 0, v0
	v_cndmask_b32_e64 v0, 0, 1, vcc
	v_lshrrev_b32_e32 v4, 8, v1
	v_bfe_u32 v9, v1, 20, 11
	v_and_or_b32 v0, v4, s17, v0
	v_sub_u32_e32 v10, 0x3f1, v9
	v_or_b32_e32 v4, 0x1000, v0
	v_med3_i32 v10, v10, 0, 13
	v_lshrrev_b32_e32 v16, v10, v4
	v_lshlrev_b32_e32 v10, v10, v16
	v_cmp_ne_u32_e32 vcc, v10, v4
	v_cndmask_b32_e64 v4, 0, 1, vcc
	v_add_u32_e32 v9, 0xfffffc10, v9
	v_or_b32_e32 v4, v16, v4
	v_lshl_or_b32 v10, v9, 12, v0
	v_cmp_gt_i32_e32 vcc, 1, v9
	v_cndmask_b32_e32 v4, v10, v4, vcc
	v_and_b32_e32 v10, 7, v4
	v_cmp_lt_i32_e32 vcc, 5, v10
	v_cmp_eq_u32_e64 s[0:1], 3, v10
	v_lshrrev_b32_e32 v10, 2, v4
	v_cvt_f64_f32_e32 v[4:5], v5
	s_or_b64 vcc, s[0:1], vcc
	v_addc_co_u32_e32 v10, vcc, 0, v10, vcc
	v_mul_f64 v[4:5], v[4:5], s[14:15]
	v_cmp_gt_i32_e32 vcc, 31, v9
	v_cndmask_b32_e32 v10, v6, v10, vcc
	v_cmp_ne_u32_e32 vcc, 0, v0
	v_cndmask_b32_e64 v0, 0, 1, vcc
	v_lshl_or_b32 v0, v0, 9, v6
	v_cmp_eq_u32_e32 vcc, s16, v9
	v_cndmask_b32_e32 v0, v10, v0, vcc
	v_lshrrev_b32_e32 v1, 16, v1
	v_and_or_b32 v10, v1, s10, v0
	v_and_or_b32 v0, v5, s18, v4
	v_cmp_ne_u32_e32 vcc, 0, v0
	v_cndmask_b32_e64 v0, 0, 1, vcc
	v_lshrrev_b32_e32 v1, 8, v5
	v_and_or_b32 v4, v1, s17, v0
	v_bfe_u32 v1, v5, 20, 11
	v_sub_u32_e32 v9, 0x3f1, v1
	v_or_b32_e32 v0, 0x1000, v4
	v_med3_i32 v9, v9, 0, 13
	v_lshrrev_b32_e32 v11, v9, v0
	v_lshlrev_b32_e32 v9, v9, v11
	v_cmp_ne_u32_e32 vcc, v9, v0
	v_cndmask_b32_e64 v0, 0, 1, vcc
	v_add_u32_e32 v9, 0xfffffc10, v1
	v_or_b32_e32 v0, v11, v0
	v_lshl_or_b32 v1, v9, 12, v4
	v_cmp_gt_i32_e32 vcc, 1, v9
	v_cndmask_b32_e32 v0, v1, v0, vcc
	v_and_b32_e32 v1, 7, v0
	v_cmp_lt_i32_e32 vcc, 5, v1
	v_cmp_eq_u32_e64 s[0:1], 3, v1
	v_lshrrev_b32_e32 v0, 2, v0
	s_or_b64 vcc, s[0:1], vcc
	v_addc_co_u32_e32 v11, vcc, 0, v0, vcc
	ds_read2_b32 v[0:1], v8 offset0:149 offset1:194
	v_cmp_gt_i32_e32 vcc, 31, v9
	v_cndmask_b32_e32 v8, v6, v11, vcc
	v_cmp_ne_u32_e32 vcc, 0, v4
	v_cndmask_b32_e64 v4, 0, 1, vcc
	s_waitcnt lgkmcnt(0)
	v_lshrrev_b32_e32 v11, 16, v0
	s_waitcnt vmcnt(3)
	v_mul_f16_sdwa v12, v11, v13 dst_sel:DWORD dst_unused:UNUSED_PAD src0_sel:DWORD src1_sel:WORD_1
	v_fma_f16 v12, v0, v13, v12
	v_cvt_f32_f16_e32 v12, v12
	v_lshl_or_b32 v4, v4, 9, v6
	v_cmp_eq_u32_e32 vcc, s16, v9
	v_cndmask_b32_e32 v4, v8, v4, vcc
	v_cvt_f64_f32_e32 v[8:9], v12
	v_lshrrev_b32_e32 v5, 16, v5
	v_and_or_b32 v12, v5, s10, v4
	v_add_co_u32_e32 v2, vcc, s3, v2
	v_mul_f64 v[4:5], v[8:9], s[14:15]
	v_mov_b32_e32 v9, s2
	v_and_b32_e32 v10, 0xffff, v10
	v_addc_co_u32_e32 v3, vcc, v3, v9, vcc
	v_lshl_or_b32 v8, v12, 16, v10
	global_store_dword v[2:3], v8, off
	v_mul_f16_sdwa v0, v0, v13 dst_sel:DWORD dst_unused:UNUSED_PAD src0_sel:DWORD src1_sel:WORD_1
	v_and_or_b32 v4, v5, s18, v4
	v_cmp_ne_u32_e32 vcc, 0, v4
	v_cndmask_b32_e64 v4, 0, 1, vcc
	v_lshrrev_b32_e32 v8, 8, v5
	v_bfe_u32 v9, v5, 20, 11
	v_and_or_b32 v4, v8, s17, v4
	v_sub_u32_e32 v10, 0x3f1, v9
	v_or_b32_e32 v8, 0x1000, v4
	v_med3_i32 v10, v10, 0, 13
	v_lshrrev_b32_e32 v12, v10, v8
	v_lshlrev_b32_e32 v10, v10, v12
	v_cmp_ne_u32_e32 vcc, v10, v8
	v_fma_f16 v0, v13, v11, -v0
	v_cndmask_b32_e64 v8, 0, 1, vcc
	v_add_u32_e32 v10, 0xfffffc10, v9
	v_cvt_f32_f16_e32 v0, v0
	v_or_b32_e32 v8, v12, v8
	v_lshl_or_b32 v9, v10, 12, v4
	v_cmp_gt_i32_e32 vcc, 1, v10
	v_cndmask_b32_e32 v8, v9, v8, vcc
	v_and_b32_e32 v9, 7, v8
	v_cmp_lt_i32_e32 vcc, 5, v9
	v_cmp_eq_u32_e64 s[0:1], 3, v9
	v_lshrrev_b32_e32 v11, 2, v8
	v_cvt_f64_f32_e32 v[8:9], v0
	s_or_b64 vcc, s[0:1], vcc
	v_addc_co_u32_e32 v0, vcc, 0, v11, vcc
	v_mul_f64 v[8:9], v[8:9], s[14:15]
	v_cmp_gt_i32_e32 vcc, 31, v10
	v_cndmask_b32_e32 v0, v6, v0, vcc
	v_cmp_ne_u32_e32 vcc, 0, v4
	v_cndmask_b32_e64 v4, 0, 1, vcc
	v_lshl_or_b32 v4, v4, 9, v6
	v_cmp_eq_u32_e32 vcc, s16, v10
	v_cndmask_b32_e32 v0, v0, v4, vcc
	v_lshrrev_b32_e32 v4, 16, v5
	v_and_or_b32 v0, v4, s10, v0
	v_and_or_b32 v4, v9, s18, v8
	v_cmp_ne_u32_e32 vcc, 0, v4
	v_cndmask_b32_e64 v4, 0, 1, vcc
	v_lshrrev_b32_e32 v5, 8, v9
	v_bfe_u32 v8, v9, 20, 11
	v_and_or_b32 v4, v5, s17, v4
	v_sub_u32_e32 v10, 0x3f1, v8
	v_or_b32_e32 v5, 0x1000, v4
	v_med3_i32 v10, v10, 0, 13
	v_lshrrev_b32_e32 v11, v10, v5
	v_lshlrev_b32_e32 v10, v10, v11
	v_cmp_ne_u32_e32 vcc, v10, v5
	v_cndmask_b32_e64 v5, 0, 1, vcc
	v_add_u32_e32 v8, 0xfffffc10, v8
	v_or_b32_e32 v5, v11, v5
	v_lshl_or_b32 v10, v8, 12, v4
	v_cmp_gt_i32_e32 vcc, 1, v8
	v_cndmask_b32_e32 v5, v10, v5, vcc
	v_and_b32_e32 v10, 7, v5
	v_cmp_lt_i32_e32 vcc, 5, v10
	v_cmp_eq_u32_e64 s[0:1], 3, v10
	v_lshrrev_b32_e32 v10, 16, v1
	v_lshrrev_b32_e32 v5, 2, v5
	s_or_b64 vcc, s[0:1], vcc
	s_waitcnt vmcnt(3)
	v_mul_f16_sdwa v11, v10, v14 dst_sel:DWORD dst_unused:UNUSED_PAD src0_sel:DWORD src1_sel:WORD_1
	v_addc_co_u32_e32 v5, vcc, 0, v5, vcc
	v_fma_f16 v11, v1, v14, v11
	v_cmp_gt_i32_e32 vcc, 31, v8
	v_cvt_f32_f16_e32 v11, v11
	v_cndmask_b32_e32 v5, v6, v5, vcc
	v_cmp_ne_u32_e32 vcc, 0, v4
	v_cndmask_b32_e64 v4, 0, 1, vcc
	v_lshl_or_b32 v4, v4, 9, v6
	v_cmp_eq_u32_e32 vcc, s16, v8
	v_cndmask_b32_e32 v8, v5, v4, vcc
	v_cvt_f64_f32_e32 v[4:5], v11
	v_lshrrev_b32_e32 v9, 16, v9
	v_and_or_b32 v8, v9, s10, v8
	v_and_b32_e32 v0, 0xffff, v0
	v_mul_f64 v[4:5], v[4:5], s[14:15]
	v_lshl_or_b32 v0, v8, 16, v0
	v_mov_b32_e32 v8, s2
	v_add_co_u32_e32 v2, vcc, s3, v2
	v_addc_co_u32_e32 v3, vcc, v3, v8, vcc
	global_store_dword v[2:3], v0, off
	v_and_or_b32 v0, v5, s18, v4
	v_cmp_ne_u32_e32 vcc, 0, v0
	v_cndmask_b32_e64 v0, 0, 1, vcc
	v_lshrrev_b32_e32 v4, 8, v5
	v_bfe_u32 v8, v5, 20, 11
	v_and_or_b32 v4, v4, s17, v0
	v_sub_u32_e32 v9, 0x3f1, v8
	v_or_b32_e32 v0, 0x1000, v4
	v_med3_i32 v9, v9, 0, 13
	v_lshrrev_b32_e32 v11, v9, v0
	v_lshlrev_b32_e32 v9, v9, v11
	v_mul_f16_sdwa v1, v1, v14 dst_sel:DWORD dst_unused:UNUSED_PAD src0_sel:DWORD src1_sel:WORD_1
	v_cmp_ne_u32_e32 vcc, v9, v0
	v_fma_f16 v1, v14, v10, -v1
	v_cndmask_b32_e64 v0, 0, 1, vcc
	v_add_u32_e32 v8, 0xfffffc10, v8
	v_cvt_f32_f16_e32 v1, v1
	v_or_b32_e32 v0, v11, v0
	v_lshl_or_b32 v9, v8, 12, v4
	v_cmp_gt_i32_e32 vcc, 1, v8
	v_cndmask_b32_e32 v0, v9, v0, vcc
	v_and_b32_e32 v9, 7, v0
	v_cmp_lt_i32_e32 vcc, 5, v9
	v_cmp_eq_u32_e64 s[0:1], 3, v9
	v_lshrrev_b32_e32 v9, 2, v0
	v_cvt_f64_f32_e32 v[0:1], v1
	s_or_b64 vcc, s[0:1], vcc
	v_addc_co_u32_e32 v9, vcc, 0, v9, vcc
	v_mul_f64 v[0:1], v[0:1], s[14:15]
	v_cmp_gt_i32_e32 vcc, 31, v8
	v_cndmask_b32_e32 v9, v6, v9, vcc
	v_cmp_ne_u32_e32 vcc, 0, v4
	v_cndmask_b32_e64 v4, 0, 1, vcc
	v_lshl_or_b32 v4, v4, 9, v6
	v_cmp_eq_u32_e32 vcc, s16, v8
	v_cndmask_b32_e32 v4, v9, v4, vcc
	v_and_or_b32 v0, v1, s18, v0
	v_lshrrev_b32_e32 v5, 16, v5
	v_cmp_ne_u32_e32 vcc, 0, v0
	v_and_or_b32 v9, v5, s10, v4
	v_cndmask_b32_e64 v0, 0, 1, vcc
	v_lshrrev_b32_e32 v4, 8, v1
	v_bfe_u32 v5, v1, 20, 11
	v_and_or_b32 v0, v4, s17, v0
	v_sub_u32_e32 v8, 0x3f1, v5
	v_or_b32_e32 v4, 0x1000, v0
	v_med3_i32 v8, v8, 0, 13
	v_lshrrev_b32_e32 v10, v8, v4
	v_lshlrev_b32_e32 v8, v8, v10
	v_cmp_ne_u32_e32 vcc, v8, v4
	v_cndmask_b32_e64 v4, 0, 1, vcc
	v_add_u32_e32 v8, 0xfffffc10, v5
	v_or_b32_e32 v4, v10, v4
	v_lshl_or_b32 v5, v8, 12, v0
	v_cmp_gt_i32_e32 vcc, 1, v8
	v_cndmask_b32_e32 v4, v5, v4, vcc
	v_and_b32_e32 v5, 7, v4
	v_cmp_lt_i32_e32 vcc, 5, v5
	v_cmp_eq_u32_e64 s[0:1], 3, v5
	v_lshrrev_b32_e32 v4, 2, v4
	s_or_b64 vcc, s[0:1], vcc
	v_addc_co_u32_e32 v10, vcc, 0, v4, vcc
	ds_read2_b32 v[4:5], v7 offset0:111 offset1:156
	v_cmp_gt_i32_e32 vcc, 31, v8
	v_cndmask_b32_e32 v7, v6, v10, vcc
	v_cmp_ne_u32_e32 vcc, 0, v0
	v_cndmask_b32_e64 v0, 0, 1, vcc
	s_waitcnt lgkmcnt(0)
	v_lshrrev_b32_e32 v10, 16, v4
	s_waitcnt vmcnt(3)
	v_mul_f16_sdwa v11, v10, v15 dst_sel:DWORD dst_unused:UNUSED_PAD src0_sel:DWORD src1_sel:WORD_1
	v_fma_f16 v11, v4, v15, v11
	v_cvt_f32_f16_e32 v11, v11
	v_lshl_or_b32 v0, v0, 9, v6
	v_cmp_eq_u32_e32 vcc, s16, v8
	v_cndmask_b32_e32 v0, v7, v0, vcc
	v_cvt_f64_f32_e32 v[7:8], v11
	v_lshrrev_b32_e32 v1, 16, v1
	v_and_or_b32 v11, v1, s10, v0
	v_add_co_u32_e32 v2, vcc, s3, v2
	v_mul_f64 v[0:1], v[7:8], s[14:15]
	v_mov_b32_e32 v8, s2
	v_and_b32_e32 v9, 0xffff, v9
	v_addc_co_u32_e32 v3, vcc, v3, v8, vcc
	v_lshl_or_b32 v7, v11, 16, v9
	global_store_dword v[2:3], v7, off
	v_mul_f16_sdwa v4, v4, v15 dst_sel:DWORD dst_unused:UNUSED_PAD src0_sel:DWORD src1_sel:WORD_1
	v_and_or_b32 v0, v1, s18, v0
	v_cmp_ne_u32_e32 vcc, 0, v0
	v_cndmask_b32_e64 v0, 0, 1, vcc
	v_lshrrev_b32_e32 v7, 8, v1
	v_bfe_u32 v8, v1, 20, 11
	v_and_or_b32 v0, v7, s17, v0
	v_sub_u32_e32 v9, 0x3f1, v8
	v_or_b32_e32 v7, 0x1000, v0
	v_med3_i32 v9, v9, 0, 13
	v_lshrrev_b32_e32 v11, v9, v7
	v_lshlrev_b32_e32 v9, v9, v11
	v_cmp_ne_u32_e32 vcc, v9, v7
	v_fma_f16 v4, v15, v10, -v4
	v_cndmask_b32_e64 v7, 0, 1, vcc
	v_add_u32_e32 v9, 0xfffffc10, v8
	v_cvt_f32_f16_e32 v4, v4
	v_or_b32_e32 v7, v11, v7
	v_lshl_or_b32 v8, v9, 12, v0
	v_cmp_gt_i32_e32 vcc, 1, v9
	v_cndmask_b32_e32 v7, v8, v7, vcc
	v_and_b32_e32 v8, 7, v7
	v_cmp_lt_i32_e32 vcc, 5, v8
	v_cmp_eq_u32_e64 s[0:1], 3, v8
	v_lshrrev_b32_e32 v10, 2, v7
	v_cvt_f64_f32_e32 v[7:8], v4
	s_or_b64 vcc, s[0:1], vcc
	v_addc_co_u32_e32 v4, vcc, 0, v10, vcc
	v_mul_f64 v[7:8], v[7:8], s[14:15]
	v_cmp_gt_i32_e32 vcc, 31, v9
	v_cndmask_b32_e32 v4, v6, v4, vcc
	v_cmp_ne_u32_e32 vcc, 0, v0
	v_cndmask_b32_e64 v0, 0, 1, vcc
	v_lshl_or_b32 v0, v0, 9, v6
	v_cmp_eq_u32_e32 vcc, s16, v9
	v_cndmask_b32_e32 v0, v4, v0, vcc
	v_lshrrev_b32_e32 v1, 16, v1
	v_and_or_b32 v0, v1, s10, v0
	v_and_or_b32 v1, v8, s18, v7
	v_cmp_ne_u32_e32 vcc, 0, v1
	v_cndmask_b32_e64 v1, 0, 1, vcc
	v_lshrrev_b32_e32 v4, 8, v8
	v_bfe_u32 v7, v8, 20, 11
	v_and_or_b32 v1, v4, s17, v1
	v_sub_u32_e32 v9, 0x3f1, v7
	v_or_b32_e32 v4, 0x1000, v1
	v_med3_i32 v9, v9, 0, 13
	v_lshrrev_b32_e32 v10, v9, v4
	v_lshlrev_b32_e32 v9, v9, v10
	v_cmp_ne_u32_e32 vcc, v9, v4
	v_cndmask_b32_e64 v4, 0, 1, vcc
	v_add_u32_e32 v7, 0xfffffc10, v7
	v_or_b32_e32 v4, v10, v4
	v_lshl_or_b32 v9, v7, 12, v1
	v_cmp_gt_i32_e32 vcc, 1, v7
	v_cndmask_b32_e32 v4, v9, v4, vcc
	v_and_b32_e32 v9, 7, v4
	v_cmp_lt_i32_e32 vcc, 5, v9
	v_cmp_eq_u32_e64 s[0:1], 3, v9
	v_lshrrev_b32_e32 v4, 2, v4
	s_or_b64 vcc, s[0:1], vcc
	v_addc_co_u32_e32 v4, vcc, 0, v4, vcc
	v_cmp_gt_i32_e32 vcc, 31, v7
	v_cndmask_b32_e32 v4, v6, v4, vcc
	v_cmp_ne_u32_e32 vcc, 0, v1
	v_cndmask_b32_e64 v1, 0, 1, vcc
	v_lshl_or_b32 v1, v1, 9, v6
	v_cmp_eq_u32_e32 vcc, s16, v7
	v_cndmask_b32_e32 v1, v4, v1, vcc
	v_lshrrev_b32_e32 v4, 16, v8
	v_and_or_b32 v1, v4, s10, v1
	v_and_b32_e32 v0, 0xffff, v0
	v_lshl_or_b32 v4, v1, 16, v0
	v_mov_b32_e32 v1, s2
	v_add_co_u32_e32 v0, vcc, s3, v2
	v_addc_co_u32_e32 v1, vcc, v3, v1, vcc
	global_store_dword v[0:1], v4, off
	global_load_dword v4, v33, s[6:7] offset:2160
	v_lshrrev_b32_e32 v7, 16, v5
	s_waitcnt vmcnt(0)
	v_mul_f16_sdwa v2, v7, v4 dst_sel:DWORD dst_unused:UNUSED_PAD src0_sel:DWORD src1_sel:WORD_1
	v_fma_f16 v2, v5, v4, v2
	v_cvt_f32_f16_e32 v2, v2
	v_mul_f16_sdwa v5, v5, v4 dst_sel:DWORD dst_unused:UNUSED_PAD src0_sel:DWORD src1_sel:WORD_1
	v_fma_f16 v4, v4, v7, -v5
	v_cvt_f32_f16_e32 v4, v4
	v_cvt_f64_f32_e32 v[2:3], v2
	v_cvt_f64_f32_e32 v[4:5], v4
	v_mul_f64 v[2:3], v[2:3], s[14:15]
	v_mul_f64 v[4:5], v[4:5], s[14:15]
	v_and_or_b32 v2, v3, s18, v2
	v_cmp_ne_u32_e32 vcc, 0, v2
	v_cndmask_b32_e64 v2, 0, 1, vcc
	v_lshrrev_b32_e32 v8, 8, v3
	v_bfe_u32 v9, v3, 20, 11
	v_and_or_b32 v2, v8, s17, v2
	v_sub_u32_e32 v10, 0x3f1, v9
	v_or_b32_e32 v8, 0x1000, v2
	v_med3_i32 v10, v10, 0, 13
	v_lshrrev_b32_e32 v11, v10, v8
	v_lshlrev_b32_e32 v10, v10, v11
	v_cmp_ne_u32_e32 vcc, v10, v8
	v_cndmask_b32_e64 v8, 0, 1, vcc
	v_add_u32_e32 v9, 0xfffffc10, v9
	v_or_b32_e32 v8, v11, v8
	v_lshl_or_b32 v10, v9, 12, v2
	v_cmp_gt_i32_e32 vcc, 1, v9
	v_cndmask_b32_e32 v8, v10, v8, vcc
	v_and_b32_e32 v10, 7, v8
	v_cmp_lt_i32_e32 vcc, 5, v10
	v_cmp_eq_u32_e64 s[0:1], 3, v10
	v_lshrrev_b32_e32 v7, 2, v8
	s_or_b64 vcc, s[0:1], vcc
	v_addc_co_u32_e32 v7, vcc, 0, v7, vcc
	v_cmp_gt_i32_e32 vcc, 31, v9
	v_cndmask_b32_e32 v7, v6, v7, vcc
	v_cmp_ne_u32_e32 vcc, 0, v2
	v_cndmask_b32_e64 v2, 0, 1, vcc
	v_lshl_or_b32 v2, v2, 9, v6
	v_cmp_eq_u32_e32 vcc, s16, v9
	v_cndmask_b32_e32 v2, v7, v2, vcc
	v_lshrrev_b32_e32 v3, 16, v3
	v_and_or_b32 v2, v3, s10, v2
	v_and_or_b32 v3, v5, s18, v4
	v_cmp_ne_u32_e32 vcc, 0, v3
	v_cndmask_b32_e64 v3, 0, 1, vcc
	v_lshrrev_b32_e32 v4, 8, v5
	v_bfe_u32 v7, v5, 20, 11
	v_and_or_b32 v3, v4, s17, v3
	v_sub_u32_e32 v8, 0x3f1, v7
	v_or_b32_e32 v4, 0x1000, v3
	v_med3_i32 v8, v8, 0, 13
	v_lshrrev_b32_e32 v9, v8, v4
	v_lshlrev_b32_e32 v8, v8, v9
	v_cmp_ne_u32_e32 vcc, v8, v4
	v_cndmask_b32_e64 v4, 0, 1, vcc
	v_add_u32_e32 v7, 0xfffffc10, v7
	v_or_b32_e32 v4, v9, v4
	v_lshl_or_b32 v8, v7, 12, v3
	v_cmp_gt_i32_e32 vcc, 1, v7
	v_cndmask_b32_e32 v4, v8, v4, vcc
	v_and_b32_e32 v8, 7, v4
	v_cmp_lt_i32_e32 vcc, 5, v8
	v_cmp_eq_u32_e64 s[0:1], 3, v8
	v_lshrrev_b32_e32 v4, 2, v4
	s_or_b64 vcc, s[0:1], vcc
	v_addc_co_u32_e32 v4, vcc, 0, v4, vcc
	v_cmp_gt_i32_e32 vcc, 31, v7
	v_cndmask_b32_e32 v4, v6, v4, vcc
	v_cmp_ne_u32_e32 vcc, 0, v3
	v_cndmask_b32_e64 v3, 0, 1, vcc
	v_lshl_or_b32 v3, v3, 9, v6
	v_cmp_eq_u32_e32 vcc, s16, v7
	v_cndmask_b32_e32 v3, v4, v3, vcc
	v_lshrrev_b32_e32 v4, 16, v5
	v_and_or_b32 v3, v4, s10, v3
	v_and_b32_e32 v2, 0xffff, v2
	v_lshl_or_b32 v2, v3, 16, v2
	v_mov_b32_e32 v3, s2
	v_add_co_u32_e32 v0, vcc, s3, v0
	v_addc_co_u32_e32 v1, vcc, v1, v3, vcc
	global_store_dword v[0:1], v2, off
.LBB0_23:
	s_endpgm
	.section	.rodata,"a",@progbits
	.p2align	6, 0x0
	.amdhsa_kernel bluestein_single_fwd_len585_dim1_half_op_CI_CI
		.amdhsa_group_segment_fixed_size 7020
		.amdhsa_private_segment_fixed_size 0
		.amdhsa_kernarg_size 104
		.amdhsa_user_sgpr_count 6
		.amdhsa_user_sgpr_private_segment_buffer 1
		.amdhsa_user_sgpr_dispatch_ptr 0
		.amdhsa_user_sgpr_queue_ptr 0
		.amdhsa_user_sgpr_kernarg_segment_ptr 1
		.amdhsa_user_sgpr_dispatch_id 0
		.amdhsa_user_sgpr_flat_scratch_init 0
		.amdhsa_user_sgpr_private_segment_size 0
		.amdhsa_uses_dynamic_stack 0
		.amdhsa_system_sgpr_private_segment_wavefront_offset 0
		.amdhsa_system_sgpr_workgroup_id_x 1
		.amdhsa_system_sgpr_workgroup_id_y 0
		.amdhsa_system_sgpr_workgroup_id_z 0
		.amdhsa_system_sgpr_workgroup_info 0
		.amdhsa_system_vgpr_workitem_id 0
		.amdhsa_next_free_vgpr 126
		.amdhsa_next_free_sgpr 30
		.amdhsa_reserve_vcc 1
		.amdhsa_reserve_flat_scratch 0
		.amdhsa_float_round_mode_32 0
		.amdhsa_float_round_mode_16_64 0
		.amdhsa_float_denorm_mode_32 3
		.amdhsa_float_denorm_mode_16_64 3
		.amdhsa_dx10_clamp 1
		.amdhsa_ieee_mode 1
		.amdhsa_fp16_overflow 0
		.amdhsa_exception_fp_ieee_invalid_op 0
		.amdhsa_exception_fp_denorm_src 0
		.amdhsa_exception_fp_ieee_div_zero 0
		.amdhsa_exception_fp_ieee_overflow 0
		.amdhsa_exception_fp_ieee_underflow 0
		.amdhsa_exception_fp_ieee_inexact 0
		.amdhsa_exception_int_div_zero 0
	.end_amdhsa_kernel
	.text
.Lfunc_end0:
	.size	bluestein_single_fwd_len585_dim1_half_op_CI_CI, .Lfunc_end0-bluestein_single_fwd_len585_dim1_half_op_CI_CI
                                        ; -- End function
	.section	.AMDGPU.csdata,"",@progbits
; Kernel info:
; codeLenInByte = 20260
; NumSgprs: 34
; NumVgprs: 126
; ScratchSize: 0
; MemoryBound: 0
; FloatMode: 240
; IeeeMode: 1
; LDSByteSize: 7020 bytes/workgroup (compile time only)
; SGPRBlocks: 4
; VGPRBlocks: 31
; NumSGPRsForWavesPerEU: 34
; NumVGPRsForWavesPerEU: 126
; Occupancy: 2
; WaveLimiterHint : 1
; COMPUTE_PGM_RSRC2:SCRATCH_EN: 0
; COMPUTE_PGM_RSRC2:USER_SGPR: 6
; COMPUTE_PGM_RSRC2:TRAP_HANDLER: 0
; COMPUTE_PGM_RSRC2:TGID_X_EN: 1
; COMPUTE_PGM_RSRC2:TGID_Y_EN: 0
; COMPUTE_PGM_RSRC2:TGID_Z_EN: 0
; COMPUTE_PGM_RSRC2:TIDIG_COMP_CNT: 0
	.type	__hip_cuid_9d9d4fcd41d6a5ea,@object ; @__hip_cuid_9d9d4fcd41d6a5ea
	.section	.bss,"aw",@nobits
	.globl	__hip_cuid_9d9d4fcd41d6a5ea
__hip_cuid_9d9d4fcd41d6a5ea:
	.byte	0                               ; 0x0
	.size	__hip_cuid_9d9d4fcd41d6a5ea, 1

	.ident	"AMD clang version 19.0.0git (https://github.com/RadeonOpenCompute/llvm-project roc-6.4.0 25133 c7fe45cf4b819c5991fe208aaa96edf142730f1d)"
	.section	".note.GNU-stack","",@progbits
	.addrsig
	.addrsig_sym __hip_cuid_9d9d4fcd41d6a5ea
	.amdgpu_metadata
---
amdhsa.kernels:
  - .args:
      - .actual_access:  read_only
        .address_space:  global
        .offset:         0
        .size:           8
        .value_kind:     global_buffer
      - .actual_access:  read_only
        .address_space:  global
        .offset:         8
        .size:           8
        .value_kind:     global_buffer
      - .actual_access:  read_only
        .address_space:  global
        .offset:         16
        .size:           8
        .value_kind:     global_buffer
      - .actual_access:  read_only
        .address_space:  global
        .offset:         24
        .size:           8
        .value_kind:     global_buffer
      - .actual_access:  read_only
        .address_space:  global
        .offset:         32
        .size:           8
        .value_kind:     global_buffer
      - .offset:         40
        .size:           8
        .value_kind:     by_value
      - .address_space:  global
        .offset:         48
        .size:           8
        .value_kind:     global_buffer
      - .address_space:  global
        .offset:         56
        .size:           8
        .value_kind:     global_buffer
      - .address_space:  global
        .offset:         64
        .size:           8
        .value_kind:     global_buffer
      - .address_space:  global
        .offset:         72
        .size:           8
        .value_kind:     global_buffer
      - .offset:         80
        .size:           4
        .value_kind:     by_value
      - .address_space:  global
        .offset:         88
        .size:           8
        .value_kind:     global_buffer
      - .address_space:  global
        .offset:         96
        .size:           8
        .value_kind:     global_buffer
    .group_segment_fixed_size: 7020
    .kernarg_segment_align: 8
    .kernarg_segment_size: 104
    .language:       OpenCL C
    .language_version:
      - 2
      - 0
    .max_flat_workgroup_size: 195
    .name:           bluestein_single_fwd_len585_dim1_half_op_CI_CI
    .private_segment_fixed_size: 0
    .sgpr_count:     34
    .sgpr_spill_count: 0
    .symbol:         bluestein_single_fwd_len585_dim1_half_op_CI_CI.kd
    .uniform_work_group_size: 1
    .uses_dynamic_stack: false
    .vgpr_count:     126
    .vgpr_spill_count: 0
    .wavefront_size: 64
amdhsa.target:   amdgcn-amd-amdhsa--gfx906
amdhsa.version:
  - 1
  - 2
...

	.end_amdgpu_metadata
